;; amdgpu-corpus repo=ROCm/rocFFT kind=compiled arch=gfx950 opt=O3
	.text
	.amdgcn_target "amdgcn-amd-amdhsa--gfx950"
	.amdhsa_code_object_version 6
	.protected	fft_rtc_fwd_len3125_factors_5_5_5_5_5_wgs_125_tpt_125_halfLds_sp_ip_CI_unitstride_sbrr_dirReg ; -- Begin function fft_rtc_fwd_len3125_factors_5_5_5_5_5_wgs_125_tpt_125_halfLds_sp_ip_CI_unitstride_sbrr_dirReg
	.globl	fft_rtc_fwd_len3125_factors_5_5_5_5_5_wgs_125_tpt_125_halfLds_sp_ip_CI_unitstride_sbrr_dirReg
	.p2align	8
	.type	fft_rtc_fwd_len3125_factors_5_5_5_5_5_wgs_125_tpt_125_halfLds_sp_ip_CI_unitstride_sbrr_dirReg,@function
fft_rtc_fwd_len3125_factors_5_5_5_5_5_wgs_125_tpt_125_halfLds_sp_ip_CI_unitstride_sbrr_dirReg: ; @fft_rtc_fwd_len3125_factors_5_5_5_5_5_wgs_125_tpt_125_halfLds_sp_ip_CI_unitstride_sbrr_dirReg
; %bb.0:
	s_load_dwordx2 s[8:9], s[0:1], 0x50
	s_load_dwordx4 s[4:7], s[0:1], 0x0
	s_load_dwordx2 s[10:11], s[0:1], 0x18
	v_mul_u32_u24_e32 v1, 0x20d, v0
	v_add_u32_sdwa v6, s2, v1 dst_sel:DWORD dst_unused:UNUSED_PAD src0_sel:DWORD src1_sel:WORD_1
	v_mov_b32_e32 v4, 0
	s_waitcnt lgkmcnt(0)
	v_cmp_lt_u64_e64 s[2:3], s[6:7], 2
	v_mov_b32_e32 v7, v4
	s_and_b64 vcc, exec, s[2:3]
	v_mov_b64_e32 v[2:3], 0
	s_cbranch_vccnz .LBB0_8
; %bb.1:
	s_load_dwordx2 s[2:3], s[0:1], 0x10
	s_add_u32 s12, s10, 8
	s_addc_u32 s13, s11, 0
	s_mov_b64 s[14:15], 1
	v_mov_b64_e32 v[2:3], 0
	s_waitcnt lgkmcnt(0)
	s_add_u32 s16, s2, 8
	s_addc_u32 s17, s3, 0
.LBB0_2:                                ; =>This Inner Loop Header: Depth=1
	s_load_dwordx2 s[18:19], s[16:17], 0x0
                                        ; implicit-def: $vgpr8_vgpr9
	s_waitcnt lgkmcnt(0)
	v_or_b32_e32 v5, s19, v7
	v_cmp_ne_u64_e32 vcc, 0, v[4:5]
	s_and_saveexec_b64 s[2:3], vcc
	s_xor_b64 s[20:21], exec, s[2:3]
	s_cbranch_execz .LBB0_4
; %bb.3:                                ;   in Loop: Header=BB0_2 Depth=1
	v_cvt_f32_u32_e32 v1, s18
	v_cvt_f32_u32_e32 v5, s19
	s_sub_u32 s2, 0, s18
	s_subb_u32 s3, 0, s19
	v_fmac_f32_e32 v1, 0x4f800000, v5
	v_rcp_f32_e32 v1, v1
	s_nop 0
	v_mul_f32_e32 v1, 0x5f7ffffc, v1
	v_mul_f32_e32 v5, 0x2f800000, v1
	v_trunc_f32_e32 v5, v5
	v_fmac_f32_e32 v1, 0xcf800000, v5
	v_cvt_u32_f32_e32 v5, v5
	v_cvt_u32_f32_e32 v1, v1
	v_mul_lo_u32 v8, s2, v5
	v_mul_hi_u32 v10, s2, v1
	v_mul_lo_u32 v9, s3, v1
	v_add_u32_e32 v10, v10, v8
	v_mul_lo_u32 v12, s2, v1
	v_add_u32_e32 v13, v10, v9
	v_mul_hi_u32 v8, v1, v12
	v_mul_hi_u32 v11, v1, v13
	v_mul_lo_u32 v10, v1, v13
	v_mov_b32_e32 v9, v4
	v_lshl_add_u64 v[8:9], v[8:9], 0, v[10:11]
	v_mul_hi_u32 v11, v5, v12
	v_mul_lo_u32 v12, v5, v12
	v_add_co_u32_e32 v8, vcc, v8, v12
	v_mul_hi_u32 v10, v5, v13
	s_nop 0
	v_addc_co_u32_e32 v8, vcc, v9, v11, vcc
	v_mov_b32_e32 v9, v4
	s_nop 0
	v_addc_co_u32_e32 v11, vcc, 0, v10, vcc
	v_mul_lo_u32 v10, v5, v13
	v_lshl_add_u64 v[8:9], v[8:9], 0, v[10:11]
	v_add_co_u32_e32 v1, vcc, v1, v8
	v_mul_lo_u32 v10, s2, v1
	s_nop 0
	v_addc_co_u32_e32 v5, vcc, v5, v9, vcc
	v_mul_lo_u32 v8, s2, v5
	v_mul_hi_u32 v9, s2, v1
	v_add_u32_e32 v8, v9, v8
	v_mul_lo_u32 v9, s3, v1
	v_add_u32_e32 v12, v8, v9
	v_mul_hi_u32 v14, v5, v10
	v_mul_lo_u32 v15, v5, v10
	v_mul_hi_u32 v9, v1, v12
	v_mul_lo_u32 v8, v1, v12
	v_mul_hi_u32 v10, v1, v10
	v_mov_b32_e32 v11, v4
	v_lshl_add_u64 v[8:9], v[10:11], 0, v[8:9]
	v_add_co_u32_e32 v8, vcc, v8, v15
	v_mul_hi_u32 v13, v5, v12
	s_nop 0
	v_addc_co_u32_e32 v8, vcc, v9, v14, vcc
	v_mul_lo_u32 v10, v5, v12
	s_nop 0
	v_addc_co_u32_e32 v11, vcc, 0, v13, vcc
	v_mov_b32_e32 v9, v4
	v_lshl_add_u64 v[8:9], v[8:9], 0, v[10:11]
	v_add_co_u32_e32 v1, vcc, v1, v8
	v_mul_hi_u32 v10, v6, v1
	s_nop 0
	v_addc_co_u32_e32 v5, vcc, v5, v9, vcc
	v_mad_u64_u32 v[8:9], s[2:3], v6, v5, 0
	v_mov_b32_e32 v11, v4
	v_lshl_add_u64 v[8:9], v[10:11], 0, v[8:9]
	v_mad_u64_u32 v[12:13], s[2:3], v7, v1, 0
	v_add_co_u32_e32 v1, vcc, v8, v12
	v_mad_u64_u32 v[10:11], s[2:3], v7, v5, 0
	s_nop 0
	v_addc_co_u32_e32 v8, vcc, v9, v13, vcc
	v_mov_b32_e32 v9, v4
	s_nop 0
	v_addc_co_u32_e32 v11, vcc, 0, v11, vcc
	v_lshl_add_u64 v[8:9], v[8:9], 0, v[10:11]
	v_mul_lo_u32 v1, s19, v8
	v_mul_lo_u32 v5, s18, v9
	v_mad_u64_u32 v[10:11], s[2:3], s18, v8, 0
	v_add3_u32 v1, v11, v5, v1
	v_sub_u32_e32 v5, v7, v1
	v_mov_b32_e32 v11, s19
	v_sub_co_u32_e32 v14, vcc, v6, v10
	v_lshl_add_u64 v[12:13], v[8:9], 0, 1
	s_nop 0
	v_subb_co_u32_e64 v5, s[2:3], v5, v11, vcc
	v_subrev_co_u32_e64 v10, s[2:3], s18, v14
	v_subb_co_u32_e32 v1, vcc, v7, v1, vcc
	s_nop 0
	v_subbrev_co_u32_e64 v5, s[2:3], 0, v5, s[2:3]
	v_cmp_le_u32_e64 s[2:3], s19, v5
	v_cmp_le_u32_e32 vcc, s19, v1
	s_nop 0
	v_cndmask_b32_e64 v11, 0, -1, s[2:3]
	v_cmp_le_u32_e64 s[2:3], s18, v10
	s_nop 1
	v_cndmask_b32_e64 v10, 0, -1, s[2:3]
	v_cmp_eq_u32_e64 s[2:3], s19, v5
	s_nop 1
	v_cndmask_b32_e64 v5, v11, v10, s[2:3]
	v_lshl_add_u64 v[10:11], v[8:9], 0, 2
	v_cmp_ne_u32_e64 s[2:3], 0, v5
	s_nop 1
	v_cndmask_b32_e64 v5, v13, v11, s[2:3]
	v_cndmask_b32_e64 v11, 0, -1, vcc
	v_cmp_le_u32_e32 vcc, s18, v14
	s_nop 1
	v_cndmask_b32_e64 v13, 0, -1, vcc
	v_cmp_eq_u32_e32 vcc, s19, v1
	s_nop 1
	v_cndmask_b32_e32 v1, v11, v13, vcc
	v_cmp_ne_u32_e32 vcc, 0, v1
	v_cndmask_b32_e64 v1, v12, v10, s[2:3]
	s_nop 0
	v_cndmask_b32_e32 v9, v9, v5, vcc
	v_cndmask_b32_e32 v8, v8, v1, vcc
.LBB0_4:                                ;   in Loop: Header=BB0_2 Depth=1
	s_andn2_saveexec_b64 s[2:3], s[20:21]
	s_cbranch_execz .LBB0_6
; %bb.5:                                ;   in Loop: Header=BB0_2 Depth=1
	v_cvt_f32_u32_e32 v1, s18
	s_sub_i32 s20, 0, s18
	v_rcp_iflag_f32_e32 v1, v1
	s_nop 0
	v_mul_f32_e32 v1, 0x4f7ffffe, v1
	v_cvt_u32_f32_e32 v1, v1
	v_mul_lo_u32 v5, s20, v1
	v_mul_hi_u32 v5, v1, v5
	v_add_u32_e32 v1, v1, v5
	v_mul_hi_u32 v1, v6, v1
	v_mul_lo_u32 v5, v1, s18
	v_sub_u32_e32 v5, v6, v5
	v_add_u32_e32 v8, 1, v1
	v_subrev_u32_e32 v9, s18, v5
	v_cmp_le_u32_e32 vcc, s18, v5
	s_nop 1
	v_cndmask_b32_e32 v5, v5, v9, vcc
	v_cndmask_b32_e32 v1, v1, v8, vcc
	v_add_u32_e32 v8, 1, v1
	v_cmp_le_u32_e32 vcc, s18, v5
	v_mov_b32_e32 v9, v4
	s_nop 0
	v_cndmask_b32_e32 v8, v1, v8, vcc
.LBB0_6:                                ;   in Loop: Header=BB0_2 Depth=1
	s_or_b64 exec, exec, s[2:3]
	v_mad_u64_u32 v[10:11], s[2:3], v8, s18, 0
	s_load_dwordx2 s[2:3], s[12:13], 0x0
	v_mul_lo_u32 v1, v9, s18
	v_mul_lo_u32 v5, v8, s19
	v_add3_u32 v1, v11, v5, v1
	v_sub_co_u32_e32 v5, vcc, v6, v10
	s_add_u32 s14, s14, 1
	s_nop 0
	v_subb_co_u32_e32 v1, vcc, v7, v1, vcc
	s_addc_u32 s15, s15, 0
	s_waitcnt lgkmcnt(0)
	v_mul_lo_u32 v1, s2, v1
	v_mul_lo_u32 v6, s3, v5
	v_mad_u64_u32 v[2:3], s[2:3], s2, v5, v[2:3]
	s_add_u32 s12, s12, 8
	v_add3_u32 v3, v6, v3, v1
	s_addc_u32 s13, s13, 0
	v_mov_b64_e32 v[6:7], s[6:7]
	s_add_u32 s16, s16, 8
	v_cmp_ge_u64_e32 vcc, s[14:15], v[6:7]
	s_addc_u32 s17, s17, 0
	s_cbranch_vccnz .LBB0_9
; %bb.7:                                ;   in Loop: Header=BB0_2 Depth=1
	v_mov_b64_e32 v[6:7], v[8:9]
	s_branch .LBB0_2
.LBB0_8:
	v_mov_b64_e32 v[8:9], v[6:7]
.LBB0_9:
	s_lshl_b64 s[2:3], s[6:7], 3
	s_add_u32 s2, s10, s2
	s_addc_u32 s3, s11, s3
	s_load_dwordx2 s[6:7], s[2:3], 0x0
	s_load_dwordx2 s[10:11], s[0:1], 0x20
	s_mov_b32 s2, 0x20c49bb
                                        ; implicit-def: $vgpr34
                                        ; implicit-def: $vgpr40
                                        ; implicit-def: $vgpr42
                                        ; implicit-def: $vgpr46
                                        ; implicit-def: $vgpr48
                                        ; implicit-def: $vgpr56
                                        ; implicit-def: $vgpr74
                                        ; implicit-def: $vgpr52
                                        ; implicit-def: $vgpr94
                                        ; implicit-def: $vgpr28
                                        ; implicit-def: $vgpr24
                                        ; implicit-def: $vgpr32
                                        ; implicit-def: $vgpr30
                                        ; implicit-def: $vgpr20
                                        ; implicit-def: $vgpr18
                                        ; implicit-def: $vgpr14
                                        ; implicit-def: $vgpr16
                                        ; implicit-def: $vgpr6
                                        ; implicit-def: $vgpr10
                                        ; implicit-def: $vgpr12
                                        ; implicit-def: $vgpr26
                                        ; implicit-def: $vgpr22
                                        ; implicit-def: $vgpr96
                                        ; implicit-def: $vgpr86
                                        ; implicit-def: $vgpr50
                                        ; implicit-def: $vgpr44
	s_waitcnt lgkmcnt(0)
	v_mul_lo_u32 v1, s6, v9
	v_mul_lo_u32 v4, s7, v8
	v_mad_u64_u32 v[2:3], s[0:1], s6, v8, v[2:3]
	v_add3_u32 v3, v4, v3, v1
	v_mul_hi_u32 v1, v0, s2
	v_mul_u32_u24_e32 v1, 0x7d, v1
	v_cmp_gt_u64_e64 s[0:1], s[10:11], v[8:9]
	v_sub_u32_e32 v36, v0, v1
	v_lshl_add_u64 v[38:39], v[2:3], 3, s[8:9]
                                        ; implicit-def: $vgpr4
                                        ; implicit-def: $vgpr0
                                        ; implicit-def: $vgpr2
                                        ; implicit-def: $vgpr8
	s_and_saveexec_b64 s[6:7], s[0:1]
	s_cbranch_execz .LBB0_11
; %bb.10:
	v_mov_b32_e32 v37, 0
	v_lshl_add_u64 v[0:1], v[36:37], 3, v[38:39]
	v_add_co_u32_e32 v2, vcc, 0x1000, v0
	s_movk_i32 s2, 0x5000
	s_nop 0
	v_addc_co_u32_e32 v3, vcc, 0, v1, vcc
	v_add_co_u32_e32 v6, vcc, 0x2000, v0
	v_add_co_u32_e64 v16, s[2:3], s2, v0
	s_nop 0
	v_addc_co_u32_e32 v7, vcc, 0, v1, vcc
	v_add_co_u32_e32 v10, vcc, 0x3000, v0
	v_addc_co_u32_e64 v17, s[2:3], 0, v1, s[2:3]
	s_nop 0
	v_addc_co_u32_e32 v11, vcc, 0, v1, vcc
	global_load_dwordx2 v[52:53], v[10:11], off offset:2712
	global_load_dwordx2 v[8:9], v[16:17], off offset:3520
	global_load_dwordx2 v[94:95], v[0:1], off
	global_load_dwordx2 v[74:75], v[0:1], off offset:1000
	global_load_dwordx2 v[48:49], v[0:1], off offset:2000
	;; [unrolled: 1-line block ×9, first 2 shown]
	v_add_co_u32_e32 v14, vcc, 0x4000, v0
	s_waitcnt vmcnt(9)
	v_mov_b32_e32 v24, v95
	v_addc_co_u32_e32 v15, vcc, 0, v1, vcc
	global_load_dwordx2 v[56:57], v[10:11], off offset:3712
	global_load_dwordx2 v[96:97], v[14:15], off offset:3616
	;; [unrolled: 1-line block ×13, first 2 shown]
	s_waitcnt vmcnt(21)
	v_mov_b32_e32 v30, v75
	s_waitcnt vmcnt(20)
	v_mov_b32_e32 v18, v49
	;; [unrolled: 2-line block ×3, first 2 shown]
	v_mov_b32_e32 v7, v9
	s_waitcnt vmcnt(18)
	v_mov_b32_e32 v28, v55
	s_waitcnt vmcnt(17)
	v_mov_b32_e32 v32, v59
	s_waitcnt vmcnt(16)
	v_mov_b32_e32 v20, v61
	s_waitcnt vmcnt(15)
	v_mov_b32_e32 v14, v63
	s_waitcnt vmcnt(13)
	v_mov_b32_e32 v10, v35
	v_mov_b32_e32 v6, v65
	;; [unrolled: 1-line block ×4, first 2 shown]
	s_waitcnt vmcnt(12)
	v_mov_b32_e32 v31, v57
	s_waitcnt vmcnt(11)
	v_mov_b32_e32 v29, v97
	;; [unrolled: 2-line block ×8, first 2 shown]
	v_mov_b32_e32 v97, v54
	v_mov_b32_e32 v87, v58
	;; [unrolled: 1-line block ×4, first 2 shown]
.LBB0_11:
	s_or_b64 exec, exec, s[6:7]
	s_mov_b32 s2, 0x3f737871
	v_mov_b32_e32 v54, v97
	s_waitcnt vmcnt(3)
	v_mov_b32_e32 v55, v22
	v_mov_b32_e32 v58, v96
	;; [unrolled: 1-line block ×3, first 2 shown]
	v_add_f32_e32 v5, v25, v23
	s_mov_b32 s3, 0x3f167918
	v_pk_add_f32 v[54:55], v[54:55], v[58:59] neg_lo:[0,1] neg_hi:[0,1]
	v_fma_f32 v102, -0.5, v5, v24
	v_add_f32_e32 v5, v29, v28
	s_mov_b32 s6, s3
	s_mov_b32 s7, s2
	v_pk_add_f32 v[80:81], v[28:29], v[24:25]
	v_pk_add_f32 v[100:101], v[28:29], v[24:25] neg_lo:[0,1] neg_hi:[0,1]
	v_fmac_f32_e32 v24, -0.5, v5
	v_pk_mul_f32 v[60:61], v[54:55], s[6:7]
	v_mov_b32_e32 v62, v86
	v_add_f32_e32 v5, v61, v24
	v_sub_f32_e32 v58, v5, v60
	v_sub_f32_e32 v5, v24, v61
	v_add_f32_e32 v59, v60, v5
	v_mov_b32_e32 v60, v87
	v_mov_b32_e32 v61, v26
	;; [unrolled: 1-line block ×3, first 2 shown]
	v_add_f32_e32 v5, v31, v27
	v_pk_add_f32 v[88:89], v[60:61], v[62:63] neg_lo:[0,1] neg_hi:[0,1]
	v_fma_f32 v24, -0.5, v5, v30
	v_add_f32_e32 v5, v33, v32
	v_pk_add_f32 v[90:91], v[32:33], v[30:31]
	v_pk_add_f32 v[104:105], v[32:33], v[30:31] neg_lo:[0,1] neg_hi:[0,1]
	v_fmac_f32_e32 v30, -0.5, v5
	v_pk_mul_f32 v[60:61], v[88:89], s[6:7]
	v_mov_b32_e32 v62, v50
	v_add_f32_e32 v5, v61, v30
	v_sub_f32_e32 v64, v5, v60
	v_sub_f32_e32 v5, v30, v61
	v_add_f32_e32 v65, v60, v5
	v_mov_b32_e32 v60, v51
	s_waitcnt vmcnt(2)
	v_mov_b32_e32 v61, v12
	v_mov_b32_e32 v63, v46
	v_add_f32_e32 v5, v19, v13
	v_pk_add_f32 v[62:63], v[60:61], v[62:63] neg_lo:[0,1] neg_hi:[0,1]
	v_fma_f32 v30, -0.5, v5, v18
	v_add_f32_e32 v5, v21, v20
	v_pk_add_f32 v[70:71], v[20:21], v[18:19]
	v_pk_add_f32 v[82:83], v[20:21], v[18:19] neg_lo:[0,1] neg_hi:[0,1]
	v_fmac_f32_e32 v18, -0.5, v5
	v_pk_mul_f32 v[66:67], v[62:63], s[6:7]
	v_mov_b32_e32 v68, v44
	v_add_f32_e32 v5, v67, v18
	v_sub_f32_e32 v60, v5, v66
	v_sub_f32_e32 v5, v18, v67
	v_add_f32_e32 v61, v66, v5
	v_mov_b32_e32 v66, v45
	s_waitcnt vmcnt(1)
	v_mov_b32_e32 v67, v2
	v_mov_b32_e32 v69, v40
	;; [unrolled: 17-line block ×3, first 2 shown]
	v_add_f32_e32 v5, v11, v1
	v_pk_add_f32 v[76:77], v[72:73], v[76:77] neg_lo:[0,1] neg_hi:[0,1]
	v_fma_f32 v104, -0.5, v5, v10
	v_add_f32_e32 v5, v7, v6
	v_pk_add_f32 v[84:85], v[6:7], v[10:11]
	v_pk_add_f32 v[98:99], v[6:7], v[10:11] neg_lo:[0,1] neg_hi:[0,1]
	v_fmac_f32_e32 v10, -0.5, v5
	v_pk_mul_f32 v[106:107], v[76:77], s[6:7]
	v_mov_b32_e32 v81, v101
	v_add_f32_e32 v5, v107, v10
	v_sub_f32_e32 v72, v5, v106
	v_sub_f32_e32 v5, v10, v107
	v_add_f32_e32 v73, v106, v5
	v_add_f32_e32 v5, v52, v22
	v_mul_f32_e32 v101, 0.5, v5
	v_mov_b32_e32 v100, v97
	v_mov_b32_e32 v10, v97
	v_add_f32_e32 v5, v96, v97
	v_pk_add_f32 v[106:107], v[94:95], v[10:11] op_sel_hi:[1,0]
	v_pk_add_f32 v[100:101], v[94:95], v[100:101] op_sel_hi:[0,1] neg_lo:[0,1] neg_hi:[0,1]
	v_mov_b32_e32 v95, v94
	v_mov_b32_e32 v94, v28
	v_mul_f32_e32 v109, 0.5, v5
	v_mov_b32_e32 v108, v29
	v_pk_add_f32 v[108:109], v[94:95], v[108:109] neg_lo:[0,1] neg_hi:[0,1]
	v_sub_f32_e32 v5, v23, v25
	v_pk_mul_f32 v[94:95], v[108:109], s[6:7]
	v_fmamk_f32 v110, v5, 0xbf737871, v109
	v_mov_b32_e32 v111, v94
	v_mul_f32_e32 v95, 0x3f737871, v5
	v_mov_b32_e32 v94, 0x3f167918
	v_pk_add_f32 v[112:113], v[108:109], v[94:95]
	v_mov_b32_e32 v53, v22
	v_pk_add_f32 v[112:113], v[112:113], v[110:111] neg_lo:[0,1] neg_hi:[0,1]
	v_pk_fma_f32 v[110:111], v[108:109], v[94:95], v[110:111]
	v_mov_b32_e32 v107, v101
	v_mov_b32_e32 v111, v113
	v_pk_add_f32 v[112:113], v[52:53], v[96:97] neg_lo:[0,1] neg_hi:[0,1]
	v_fmac_f32_e32 v101, 0xbf737871, v108
	v_add_f32_e32 v10, v112, v113
	v_mul_f32_e32 v10, 0x3e9e377a, v10
	v_mul_f32_e32 v113, 0x3f737871, v108
	v_mov_b32_e32 v112, v22
	v_pk_add_f32 v[110:111], v[10:11], v[110:111] op_sel_hi:[0,1]
	v_pk_add_f32 v[106:107], v[112:113], v[106:107]
	v_mul_f32_e32 v10, 0x3f167918, v5
	v_pk_add_f32 v[112:113], v[96:97], v[52:53] neg_lo:[0,1] neg_hi:[0,1]
	v_mov_b32_e32 v53, v10
	v_add_f32_e32 v10, v112, v113
	v_pk_add_f32 v[52:53], v[52:53], v[106:107]
	v_mul_f32_e32 v97, 0x3e9e377a, v10
	v_mov_b32_e32 v91, v105
	v_pk_add_f32 v[52:53], v[96:97], v[52:53]
	v_mad_u32_u24 v105, v36, 20, 0
	v_fmac_f32_e32 v101, 0xbf167918, v5
	v_add_f32_e32 v5, v56, v26
	ds_write2_b32 v105, v52, v53 offset1:1
	ds_write2_b32 v105, v110, v111 offset0:2 offset1:3
	v_fmac_f32_e32 v101, 0x3e9e377a, v10
	v_mul_f32_e32 v53, 0.5, v5
	v_mov_b32_e32 v52, v87
	v_mov_b32_e32 v10, v87
	v_add_f32_e32 v5, v86, v87
	ds_write_b32 v105, v101 offset:16
	v_pk_add_f32 v[96:97], v[74:75], v[10:11] op_sel_hi:[1,0]
	v_pk_add_f32 v[52:53], v[74:75], v[52:53] op_sel_hi:[0,1] neg_lo:[0,1] neg_hi:[0,1]
	v_mov_b32_e32 v75, v74
	v_mov_b32_e32 v74, v32
	v_mul_f32_e32 v101, 0.5, v5
	v_mov_b32_e32 v100, v33
	v_pk_add_f32 v[74:75], v[74:75], v[100:101] neg_lo:[0,1] neg_hi:[0,1]
	v_sub_f32_e32 v5, v27, v31
	v_mul_f32_e32 v95, 0x3f737871, v5
	v_pk_mul_f32 v[100:101], v[74:75], s[6:7]
	v_pk_add_f32 v[106:107], v[74:75], v[94:95]
	v_mov_b32_e32 v101, v100
	v_fmamk_f32 v100, v5, 0xbf737871, v75
	v_pk_add_f32 v[106:107], v[106:107], v[100:101] neg_lo:[0,1] neg_hi:[0,1]
	v_pk_fma_f32 v[100:101], v[74:75], v[94:95], v[100:101]
	v_mov_b32_e32 v57, v26
	v_mov_b32_e32 v101, v107
	v_pk_add_f32 v[106:107], v[56:57], v[86:87] neg_lo:[0,1] neg_hi:[0,1]
	v_mov_b32_e32 v97, v53
	v_add_f32_e32 v10, v106, v107
	v_mul_f32_e32 v10, 0x3e9e377a, v10
	v_mul_f32_e32 v107, 0x3f737871, v74
	v_mov_b32_e32 v106, v26
	v_pk_add_f32 v[100:101], v[10:11], v[100:101] op_sel_hi:[0,1]
	v_pk_add_f32 v[96:97], v[106:107], v[96:97]
	v_mul_f32_e32 v10, 0x3f167918, v5
	v_pk_add_f32 v[106:107], v[86:87], v[56:57] neg_lo:[0,1] neg_hi:[0,1]
	v_fmac_f32_e32 v53, 0xbf737871, v74
	v_mov_b32_e32 v57, v10
	v_add_f32_e32 v10, v106, v107
	v_fmac_f32_e32 v53, 0xbf167918, v5
	v_pk_add_f32 v[56:57], v[56:57], v[96:97]
	v_mul_f32_e32 v87, 0x3e9e377a, v10
	v_fmac_f32_e32 v53, 0x3e9e377a, v10
	v_add_f32_e32 v5, v46, v12
	v_pk_add_f32 v[56:57], v[86:87], v[56:57]
	v_add_u32_e32 v71, 0x9c4, v105
	ds_write_b32 v105, v53 offset:2516
	v_mul_f32_e32 v53, 0.5, v5
	v_mov_b32_e32 v52, v51
	v_mov_b32_e32 v10, v51
	v_add_f32_e32 v5, v50, v51
	ds_write2_b32 v71, v56, v57 offset1:1
	v_pk_add_f32 v[56:57], v[48:49], v[10:11] op_sel_hi:[1,0]
	v_pk_add_f32 v[52:53], v[48:49], v[52:53] op_sel_hi:[0,1] neg_lo:[0,1] neg_hi:[0,1]
	v_mov_b32_e32 v49, v48
	v_mov_b32_e32 v48, v20
	v_mul_f32_e32 v75, 0.5, v5
	v_mov_b32_e32 v74, v21
	v_pk_add_f32 v[48:49], v[48:49], v[74:75] neg_lo:[0,1] neg_hi:[0,1]
	v_sub_f32_e32 v5, v13, v19
	v_mul_f32_e32 v95, 0x3f737871, v5
	v_pk_mul_f32 v[74:75], v[48:49], s[6:7]
	v_pk_add_f32 v[86:87], v[48:49], v[94:95]
	v_mov_b32_e32 v75, v74
	v_fmamk_f32 v74, v5, 0xbf737871, v49
	v_pk_add_f32 v[86:87], v[86:87], v[74:75] neg_lo:[0,1] neg_hi:[0,1]
	v_pk_fma_f32 v[74:75], v[48:49], v[94:95], v[74:75]
	v_mov_b32_e32 v47, v12
	v_mov_b32_e32 v75, v87
	v_pk_add_f32 v[86:87], v[46:47], v[50:51] neg_lo:[0,1] neg_hi:[0,1]
	v_mov_b32_e32 v57, v53
	v_add_f32_e32 v10, v86, v87
	v_mul_f32_e32 v10, 0x3e9e377a, v10
	v_pk_add_f32 v[86:87], v[10:11], v[74:75] op_sel_hi:[0,1]
	v_mul_f32_e32 v75, 0x3f737871, v48
	v_mov_b32_e32 v74, v12
	v_pk_add_f32 v[56:57], v[74:75], v[56:57]
	v_mul_f32_e32 v10, 0x3f167918, v5
	v_pk_add_f32 v[74:75], v[50:51], v[46:47] neg_lo:[0,1] neg_hi:[0,1]
	v_mov_b32_e32 v47, v10
	v_add_f32_e32 v10, v74, v75
	v_pk_add_f32 v[46:47], v[46:47], v[56:57]
	v_mul_f32_e32 v51, 0x3e9e377a, v10
	v_fmac_f32_e32 v53, 0xbf737871, v48
	v_add_u32_e32 v75, 0xfa, v36
	v_add_u32_e32 v79, 0x9cc, v105
	v_pk_add_f32 v[46:47], v[50:51], v[46:47]
	v_mad_u32_u24 v82, v75, 20, 0
	v_fmac_f32_e32 v53, 0xbf167918, v5
	v_add_f32_e32 v5, v40, v2
	ds_write2_b32 v79, v100, v101 offset1:1
	ds_write2_b32 v82, v46, v47 offset1:1
	ds_write2_b32 v82, v86, v87 offset0:2 offset1:3
	v_fmac_f32_e32 v53, 0x3e9e377a, v10
	v_mul_f32_e32 v47, 0.5, v5
	v_mov_b32_e32 v46, v45
	v_mov_b32_e32 v10, v45
	v_add_f32_e32 v5, v44, v45
	v_pk_add_f32 v[48:49], v[42:43], v[10:11] op_sel_hi:[1,0]
	v_pk_add_f32 v[46:47], v[42:43], v[46:47] op_sel_hi:[0,1] neg_lo:[0,1] neg_hi:[0,1]
	v_mov_b32_e32 v43, v42
	v_mov_b32_e32 v42, v14
	v_mul_f32_e32 v51, 0.5, v5
	v_mov_b32_e32 v50, v15
	v_pk_add_f32 v[42:43], v[42:43], v[50:51] neg_lo:[0,1] neg_hi:[0,1]
	v_sub_f32_e32 v5, v3, v17
	v_mul_f32_e32 v95, 0x3f737871, v5
	v_pk_mul_f32 v[50:51], v[42:43], s[6:7]
	ds_write_b32 v82, v53 offset:16
	v_mov_b32_e32 v51, v50
	v_fmamk_f32 v50, v5, 0xbf737871, v43
	v_pk_add_f32 v[52:53], v[42:43], v[94:95]
	v_mov_b32_e32 v41, v2
	v_pk_add_f32 v[52:53], v[52:53], v[50:51] neg_lo:[0,1] neg_hi:[0,1]
	v_pk_fma_f32 v[50:51], v[42:43], v[94:95], v[50:51]
	v_mov_b32_e32 v49, v47
	v_mov_b32_e32 v51, v53
	v_pk_add_f32 v[52:53], v[40:41], v[44:45] neg_lo:[0,1] neg_hi:[0,1]
	v_fmac_f32_e32 v47, 0xbf737871, v42
	v_add_f32_e32 v10, v52, v53
	v_mul_f32_e32 v10, 0x3e9e377a, v10
	v_mul_f32_e32 v53, 0x3f737871, v42
	v_mov_b32_e32 v52, v2
	v_pk_add_f32 v[50:51], v[10:11], v[50:51] op_sel_hi:[0,1]
	v_pk_add_f32 v[48:49], v[52:53], v[48:49]
	v_mul_f32_e32 v10, 0x3f167918, v5
	v_pk_add_f32 v[52:53], v[44:45], v[40:41] neg_lo:[0,1] neg_hi:[0,1]
	v_mov_b32_e32 v41, v10
	v_add_f32_e32 v10, v52, v53
	v_pk_add_f32 v[40:41], v[40:41], v[48:49]
	v_mul_f32_e32 v45, 0x3e9e377a, v10
	v_add_u32_e32 v86, 0x177, v36
	v_pk_add_f32 v[40:41], v[44:45], v[40:41]
	v_mad_u32_u24 v87, v86, 20, 0
	v_fmac_f32_e32 v47, 0xbf167918, v5
	v_add_f32_e32 v5, v4, v0
	ds_write2_b32 v87, v40, v41 offset1:1
	ds_write2_b32 v87, v50, v51 offset0:2 offset1:3
	v_fmac_f32_e32 v47, 0x3e9e377a, v10
	v_mul_f32_e32 v41, 0.5, v5
	v_mov_b32_e32 v40, v9
	v_mov_b32_e32 v10, v9
	v_add_f32_e32 v5, v8, v9
	v_pk_add_f32 v[42:43], v[34:35], v[10:11] op_sel_hi:[1,0]
	v_pk_add_f32 v[40:41], v[34:35], v[40:41] op_sel_hi:[0,1] neg_lo:[0,1] neg_hi:[0,1]
	v_mov_b32_e32 v35, v34
	v_mov_b32_e32 v34, v6
	v_mul_f32_e32 v45, 0.5, v5
	v_mov_b32_e32 v44, v7
	v_pk_add_f32 v[34:35], v[34:35], v[44:45] neg_lo:[0,1] neg_hi:[0,1]
	v_sub_f32_e32 v16, v1, v11
	v_mul_f32_e32 v95, 0x3f737871, v16
	v_pk_mul_f32 v[44:45], v[34:35], s[6:7]
	ds_write_b32 v87, v47 offset:16
	v_mov_b32_e32 v45, v44
	v_fmamk_f32 v44, v16, 0xbf737871, v35
	v_pk_add_f32 v[46:47], v[34:35], v[94:95]
	v_pk_fma_f32 v[48:49], v[34:35], v[94:95], v[44:45]
	v_pk_add_f32 v[44:45], v[46:47], v[44:45] neg_lo:[0,1] neg_hi:[0,1]
	v_mov_b32_e32 v5, v0
	v_mov_b32_e32 v49, v45
	v_pk_add_f32 v[44:45], v[4:5], v[8:9] neg_lo:[0,1] neg_hi:[0,1]
	v_mov_b32_e32 v43, v41
	v_add_f32_e32 v10, v44, v45
	v_mul_f32_e32 v10, 0x3e9e377a, v10
	v_mul_f32_e32 v47, 0x3f737871, v34
	v_mov_b32_e32 v46, v0
	v_pk_add_f32 v[44:45], v[10:11], v[48:49] op_sel_hi:[0,1]
	v_pk_add_f32 v[42:43], v[46:47], v[42:43]
	v_mul_f32_e32 v10, 0x3f167918, v16
	v_pk_add_f32 v[46:47], v[8:9], v[4:5] neg_lo:[0,1] neg_hi:[0,1]
	v_mov_b32_e32 v5, v10
	v_add_f32_e32 v10, v46, v47
	v_pk_add_f32 v[4:5], v[4:5], v[42:43]
	v_mul_f32_e32 v9, 0x3e9e377a, v10
	v_pk_add_f32 v[4:5], v[8:9], v[4:5]
	v_add_u32_e32 v118, 0x2710, v105
	ds_write2_b32 v118, v4, v5 offset1:1
	v_mov_b32_e32 v5, v28
	v_pk_add_f32 v[4:5], v[4:5], v[22:23] neg_lo:[0,1] neg_hi:[0,1]
	v_mov_b32_e32 v111, 0x3e9e377a
	v_mov_b32_e32 v4, v23
	v_pk_add_f32 v[106:107], v[4:5], v[80:81]
	v_mov_b32_e32 v5, v32
	v_pk_add_f32 v[4:5], v[4:5], v[26:27] neg_lo:[0,1] neg_hi:[0,1]
	v_mov_b32_e32 v26, v27
	v_mov_b32_e32 v4, v27
	;; [unrolled: 1-line block ×3, first 2 shown]
	v_pk_add_f32 v[26:27], v[26:27], v[32:33] neg_lo:[0,1] neg_hi:[0,1]
	v_mov_b32_e32 v110, v25
	v_add_f32_e32 v22, v27, v26
	v_pk_add_f32 v[4:5], v[4:5], v[90:91]
	s_mov_b32 s7, 0x3e9e377a
	v_pk_mul_f32 v[108:109], v[88:89], s[2:3]
	v_pk_add_f32 v[112:113], v[110:111], v[106:107]
	v_mov_b32_e32 v110, v31
	v_mul_f32_e32 v22, 0x3e9e377a, v22
	v_pk_add_f32 v[8:9], v[110:111], v[4:5]
	v_pk_mul_f32 v[114:115], v[4:5], s[6:7]
	v_sub_f32_e32 v4, v24, v108
	v_pk_add_f32 v[26:27], v[22:23], v[64:65] op_sel_hi:[0,1]
	v_mov_b32_e32 v22, v23
	v_mov_b32_e32 v23, v25
	v_fmac_f32_e32 v41, 0xbf737871, v34
	v_mov_b32_e32 v9, v115
	v_sub_f32_e32 v5, v4, v109
	v_mov_b32_e32 v4, v33
	v_pk_add_f32 v[22:23], v[22:23], v[28:29] neg_lo:[0,1] neg_hi:[0,1]
	v_fmac_f32_e32 v41, 0xbf167918, v16
	v_pk_add_f32 v[116:117], v[4:5], v[8:9]
	v_lshlrev_b32_e32 v4, 4, v36
	v_lshlrev_b32_e32 v96, 4, v86
	v_add_f32_e32 v24, v108, v24
	v_add_f32_e32 v22, v23, v22
	v_add_u32_e32 v119, 0x2718, v105
	v_fmac_f32_e32 v41, 0x3e9e377a, v10
	v_sub_u32_e32 v37, v105, v4
	v_lshlrev_b32_e32 v95, 4, v75
	v_sub_u32_e32 v101, v87, v96
	v_add_f32_e32 v31, v109, v24
	v_pk_mul_f32 v[24:25], v[54:55], s[2:3]
	v_mul_f32_e32 v22, 0x3e9e377a, v22
	ds_write2_b32 v119, v44, v45 offset1:1
	ds_write_b32 v105, v41 offset:10016
	s_waitcnt lgkmcnt(0)
	s_barrier
	v_add_u32_e32 v88, 0x600, v37
	v_add_u32_e32 v80, 0x1200, v37
	;; [unrolled: 1-line block ×6, first 2 shown]
	v_sub_u32_e32 v100, v82, v95
	v_add_u32_e32 v92, 0x1600, v37
	v_add_u32_e32 v94, 0x2a00, v37
	;; [unrolled: 1-line block ×4, first 2 shown]
	ds_read_b32 v10, v101
	ds_read_b32 v16, v100
	ds_read_b32 v18, v37 offset:12000
	ds_read2_b32 v[8:9], v37 offset1:125
	ds_read2_b32 v[4:5], v88 offset0:116 offset1:241
	ds_read2_b32 v[34:35], v80 offset0:98 offset1:223
	ds_read2_b32 v[46:47], v91 offset0:86 offset1:211
	ds_read2_b32 v[48:49], v81 offset0:68 offset1:193
	ds_read2_b32 v[40:41], v89 offset0:110 offset1:235
	ds_read2_b32 v[50:51], v90 offset0:80 offset1:205
	ds_read2_b32 v[42:43], v92 offset0:92 offset1:217
	ds_read2_b32 v[52:53], v94 offset0:62 offset1:187
	ds_read2_b32 v[44:45], v97 offset0:104 offset1:229
	ds_read2_b32 v[56:57], v98 offset0:74 offset1:199
	s_waitcnt lgkmcnt(0)
	s_barrier
	ds_write2_b32 v79, v26, v27 offset1:1
	v_sub_f32_e32 v26, v102, v24
	v_add_f32_e32 v24, v24, v102
	v_pk_add_f32 v[22:23], v[22:23], v[58:59] op_sel_hi:[0,1]
	v_add_f32_e32 v32, v25, v24
	v_sub_f32_e32 v25, v26, v25
	v_pk_mul_f32 v[26:27], v[106:107], s[6:7]
	ds_write2_b32 v105, v22, v23 offset0:2 offset1:3
	v_mov_b32_e32 v23, v20
	v_mov_b32_e32 v24, v29
	;; [unrolled: 1-line block ×3, first 2 shown]
	v_pk_add_f32 v[22:23], v[22:23], v[12:13] neg_lo:[0,1] neg_hi:[0,1]
	v_pk_add_f32 v[24:25], v[24:25], v[112:113]
	v_mov_b32_e32 v22, v13
	v_mov_b32_e32 v12, v13
	;; [unrolled: 1-line block ×3, first 2 shown]
	ds_write2_b32 v71, v116, v117 offset1:1
	v_mov_b32_e32 v71, v83
	ds_write2_b32 v105, v24, v25 offset1:1
	v_pk_mul_f32 v[24:25], v[62:63], s[2:3]
	v_pk_add_f32 v[12:13], v[12:13], v[20:21] neg_lo:[0,1] neg_hi:[0,1]
	v_pk_add_f32 v[22:23], v[22:23], v[70:71]
	v_mov_b32_e32 v110, v19
	v_sub_f32_e32 v19, v30, v24
	v_add_f32_e32 v24, v24, v30
	v_add_f32_e32 v12, v13, v12
	;; [unrolled: 1-line block ×3, first 2 shown]
	v_mov_b32_e32 v24, v21
	v_pk_add_f32 v[20:21], v[110:111], v[22:23]
	v_pk_mul_f32 v[22:23], v[22:23], s[6:7]
	v_mul_f32_e32 v12, 0x3e9e377a, v12
	v_add_f32_e32 v26, v27, v32
	v_sub_f32_e32 v25, v19, v25
	v_mov_b32_e32 v21, v23
	v_pk_add_f32 v[12:13], v[12:13], v[60:61] op_sel_hi:[0,1]
	v_add_f32_e32 v27, v115, v31
	v_pk_add_f32 v[20:21], v[24:25], v[20:21]
	ds_write_b32 v105, v26 offset:16
	ds_write_b32 v105, v27 offset:2516
	ds_write2_b32 v82, v20, v21 offset1:1
	ds_write2_b32 v82, v12, v13 offset0:2 offset1:3
	v_mov_b32_e32 v13, v14
	v_pk_add_f32 v[12:13], v[12:13], v[2:3] neg_lo:[0,1] neg_hi:[0,1]
	v_mov_b32_e32 v2, v3
	v_mov_b32_e32 v12, v3
	v_mov_b32_e32 v3, v17
	v_mov_b32_e32 v79, v93
	v_pk_mul_f32 v[20:21], v[68:69], s[2:3]
	v_pk_add_f32 v[2:3], v[2:3], v[14:15] neg_lo:[0,1] neg_hi:[0,1]
	v_pk_add_f32 v[12:13], v[12:13], v[78:79]
	v_mov_b32_e32 v110, v17
	v_sub_f32_e32 v17, v103, v20
	v_add_f32_e32 v20, v20, v103
	v_add_f32_e32 v2, v3, v2
	;; [unrolled: 1-line block ×3, first 2 shown]
	v_mov_b32_e32 v20, v15
	v_pk_add_f32 v[14:15], v[110:111], v[12:13]
	v_pk_mul_f32 v[12:13], v[12:13], s[6:7]
	v_mul_f32_e32 v2, 0x3e9e377a, v2
	v_add_f32_e32 v19, v23, v28
	v_sub_f32_e32 v21, v17, v21
	v_mov_b32_e32 v15, v13
	v_pk_add_f32 v[2:3], v[2:3], v[66:67] op_sel_hi:[0,1]
	v_pk_add_f32 v[14:15], v[20:21], v[14:15]
	ds_write_b32 v82, v19 offset:16
	ds_write2_b32 v87, v14, v15 offset1:1
	ds_write2_b32 v87, v2, v3 offset0:2 offset1:3
	v_mov_b32_e32 v3, v6
	v_pk_add_f32 v[2:3], v[2:3], v[0:1] neg_lo:[0,1] neg_hi:[0,1]
	v_mov_b32_e32 v85, v99
	v_mov_b32_e32 v2, v1
	;; [unrolled: 1-line block ×4, first 2 shown]
	v_add_f32_e32 v17, v13, v22
	v_pk_add_f32 v[2:3], v[2:3], v[84:85]
	v_mov_b32_e32 v110, v11
	v_pk_mul_f32 v[12:13], v[76:77], s[2:3]
	v_pk_add_f32 v[0:1], v[0:1], v[6:7] neg_lo:[0,1] neg_hi:[0,1]
	v_sub_f32_e32 v11, v104, v12
	v_add_f32_e32 v12, v12, v104
	v_add_f32_e32 v6, v1, v0
	v_pk_add_f32 v[0:1], v[110:111], v[2:3]
	v_pk_mul_f32 v[2:3], v[2:3], s[6:7]
	v_add_f32_e32 v14, v13, v12
	v_sub_f32_e32 v13, v11, v13
	v_mov_b32_e32 v12, v7
	v_mov_b32_e32 v1, v3
	v_pk_add_f32 v[0:1], v[12:13], v[0:1]
	v_mul_f32_e32 v2, 0x3e9e377a, v6
	v_add_f32_e32 v3, v3, v14
	v_add_u32_e32 v74, 0x1f4, v36
	ds_write_b32 v87, v17 offset:16
	ds_write2_b32 v118, v0, v1 offset1:1
	v_pk_add_f32 v[0:1], v[2:3], v[72:73] op_sel_hi:[0,1]
	s_mov_b32 s6, 0xcccd
	ds_write2_b32 v119, v0, v1 offset1:1
	ds_write_b32 v105, v3 offset:10016
	v_mul_u32_u24_sdwa v0, v74, s6 dst_sel:DWORD dst_unused:UNUSED_PAD src0_sel:WORD_0 src1_sel:DWORD
	v_lshrrev_b32_e32 v6, 18, v0
	v_mul_lo_u16_e32 v0, 5, v6
	v_sub_u16_e32 v7, v74, v0
	v_lshlrev_b32_e32 v11, 5, v7
	s_waitcnt lgkmcnt(0)
	s_barrier
	global_load_dwordx4 v[0:3], v11, s[4:5] offset:16
	v_mul_u32_u24_sdwa v12, v86, s6 dst_sel:DWORD dst_unused:UNUSED_PAD src0_sel:WORD_0 src1_sel:DWORD
	v_lshrrev_b32_e32 v27, 18, v12
	v_mul_lo_u16_e32 v12, 5, v27
	v_sub_u16_e32 v19, v86, v12
	v_lshlrev_b32_e32 v12, 5, v19
	global_load_dwordx4 v[28:31], v12, s[4:5] offset:16
	v_mul_u32_u24_sdwa v13, v75, s6 dst_sel:DWORD dst_unused:UNUSED_PAD src0_sel:WORD_0 src1_sel:DWORD
	v_lshrrev_b32_e32 v32, 18, v13
	v_mul_lo_u16_e32 v13, 5, v32
	v_sub_u16_e32 v33, v75, v13
	v_lshlrev_b32_e32 v13, 5, v33
	global_load_dwordx4 v[58:61], v13, s[4:5] offset:16
	s_movk_i32 s6, 0xcd
	v_add_u32_e32 v66, 0x7d, v36
	v_mul_lo_u16_sdwa v14, v66, s6 dst_sel:DWORD dst_unused:UNUSED_PAD src0_sel:BYTE_0 src1_sel:DWORD
	v_lshrrev_b16_e32 v54, 10, v14
	v_mul_lo_u16_e32 v14, 5, v54
	v_sub_u16_e32 v55, v66, v14
	v_mov_b32_e32 v17, 5
	v_lshlrev_b32_sdwa v14, v17, v55 dst_sel:DWORD dst_unused:UNUSED_PAD src0_sel:DWORD src1_sel:BYTE_0
	global_load_dwordx4 v[62:65], v14, s[4:5] offset:16
	v_mul_lo_u16_sdwa v15, v36, s6 dst_sel:DWORD dst_unused:UNUSED_PAD src0_sel:BYTE_0 src1_sel:DWORD
	v_lshrrev_b16_e32 v67, 10, v15
	v_mul_lo_u16_e32 v15, 5, v67
	v_sub_u16_e32 v72, v36, v15
	v_lshlrev_b32_sdwa v15, v17, v72 dst_sel:DWORD dst_unused:UNUSED_PAD src0_sel:DWORD src1_sel:BYTE_0
	global_load_dwordx4 v[68:71], v15, s[4:5] offset:16
	global_load_dwordx4 v[76:79], v11, s[4:5]
	global_load_dwordx4 v[102:105], v12, s[4:5]
	;; [unrolled: 1-line block ×4, first 2 shown]
	ds_read_b32 v12, v37 offset:12000
	ds_read2_b32 v[20:21], v98 offset0:74 offset1:199
	ds_read_b32 v13, v101
	ds_read_b32 v22, v100
	global_load_dwordx4 v[114:117], v15, s[4:5]
	s_mov_b32 s6, 0x5040100
	v_lshlrev_b32_e32 v7, 2, v7
	v_mul_u32_u24_e32 v6, 0x64, v6
	v_add3_u32 v6, 0, v6, v7
	s_movk_i32 s10, 0x2000
	s_waitcnt vmcnt(9) lgkmcnt(3)
	v_mul_f32_e32 v11, v12, v3
	v_fma_f32 v14, v18, v2, -v11
	v_mul_f32_e32 v11, v18, v3
	v_fmac_f32_e32 v11, v12, v2
	s_waitcnt lgkmcnt(2)
	v_mul_f32_e32 v2, v21, v1
	v_mul_f32_e32 v12, v57, v1
	v_fma_f32 v15, v57, v0, -v2
	v_fmac_f32_e32 v12, v21, v0
	ds_read2_b32 v[0:1], v94 offset0:62 offset1:187
	s_waitcnt vmcnt(8)
	v_mul_f32_e32 v2, v20, v29
	v_fma_f32 v24, v56, v28, -v2
	v_mul_f32_e32 v18, v56, v29
	v_fmac_f32_e32 v18, v20, v28
	s_waitcnt lgkmcnt(0)
	v_mul_f32_e32 v2, v1, v31
	v_fma_f32 v25, v53, v30, -v2
	ds_read2_b32 v[2:3], v90 offset0:80 offset1:205
	v_mul_f32_e32 v20, v53, v31
	s_waitcnt vmcnt(7)
	v_mul_f32_e32 v29, v52, v61
	v_fmac_f32_e32 v20, v1, v30
	v_mul_f32_e32 v1, v0, v61
	v_fmac_f32_e32 v29, v0, v60
	s_waitcnt lgkmcnt(0)
	v_mul_f32_e32 v0, v3, v59
	v_fma_f32 v73, v52, v60, -v1
	v_fma_f32 v83, v51, v58, -v0
	ds_read2_b32 v[0:1], v81 offset0:68 offset1:193
	v_mul_f32_e32 v30, v51, v59
	s_waitcnt vmcnt(6)
	v_mul_f32_e32 v85, v50, v63
	v_fmac_f32_e32 v30, v3, v58
	v_mul_f32_e32 v3, v2, v63
	v_fmac_f32_e32 v85, v2, v62
	s_waitcnt lgkmcnt(0)
	v_mul_f32_e32 v2, v1, v65
	v_fma_f32 v84, v50, v62, -v3
	v_fma_f32 v93, v49, v64, -v2
	ds_read2_b32 v[2:3], v91 offset0:86 offset1:211
	v_mul_f32_e32 v99, v49, v65
	v_fmac_f32_e32 v99, v1, v64
	s_waitcnt vmcnt(5)
	v_mul_f32_e32 v1, v0, v71
	v_mul_f32_e32 v71, v48, v71
	v_fmac_f32_e32 v71, v0, v70
	s_waitcnt lgkmcnt(0)
	v_mul_f32_e32 v0, v3, v69
	v_fma_f32 v49, v48, v70, -v1
	v_fma_f32 v48, v47, v68, -v0
	ds_read2_b32 v[0:1], v97 offset0:104 offset1:229
	v_mul_f32_e32 v69, v47, v69
	s_waitcnt vmcnt(4)
	v_mul_f32_e32 v21, v46, v79
	v_fmac_f32_e32 v69, v3, v68
	v_mul_f32_e32 v3, v2, v79
	v_fmac_f32_e32 v21, v2, v78
	s_waitcnt lgkmcnt(0)
	v_mul_f32_e32 v2, v1, v77
	v_fma_f32 v26, v46, v78, -v3
	v_fma_f32 v28, v45, v76, -v2
	ds_read2_b32 v[2:3], v92 offset0:92 offset1:217
	v_mul_f32_e32 v23, v45, v77
	s_waitcnt vmcnt(3)
	v_mul_f32_e32 v31, v44, v103
	v_fmac_f32_e32 v23, v1, v76
	;; [unrolled: 11-line block ×4, first 2 shown]
	v_mul_f32_e32 v1, v0, v111
	v_fmac_f32_e32 v104, v0, v110
	s_waitcnt lgkmcnt(0)
	v_mul_f32_e32 v0, v3, v113
	v_fma_f32 v103, v40, v110, -v1
	v_fma_f32 v105, v35, v112, -v0
	ds_read2_b32 v[0:1], v88 offset0:116 offset1:241
	v_mul_f32_e32 v35, v35, v113
	v_fmac_f32_e32 v35, v3, v112
	s_waitcnt vmcnt(0)
	v_mul_f32_e32 v3, v2, v117
	v_fma_f32 v40, v34, v116, -v3
	v_mul_f32_e32 v34, v34, v117
	v_fmac_f32_e32 v34, v2, v116
	s_waitcnt lgkmcnt(0)
	v_mul_f32_e32 v2, v1, v115
	v_fma_f32 v41, v5, v114, -v2
	v_mul_f32_e32 v5, v5, v115
	v_fmac_f32_e32 v5, v1, v114
	v_sub_f32_e32 v1, v41, v40
	v_sub_f32_e32 v2, v49, v48
	v_mov_b32_e32 v62, 2
	v_add_f32_e32 v1, v1, v2
	v_lshlrev_b32_sdwa v2, v62, v72 dst_sel:DWORD dst_unused:UNUSED_PAD src0_sel:DWORD src1_sel:BYTE_0
	v_mul_u32_u24_e32 v3, 0x64, v67
	v_add3_u32 v67, 0, v3, v2
	v_add_f32_e32 v2, v8, v41
	v_add_f32_e32 v2, v2, v40
	;; [unrolled: 1-line block ×5, first 2 shown]
	v_fma_f32 v43, -0.5, v2, v8
	v_sub_f32_e32 v44, v5, v71
	v_fmamk_f32 v45, v44, 0x3f737871, v43
	v_sub_f32_e32 v46, v34, v69
	v_fmac_f32_e32 v45, 0x3f167918, v46
	v_fmac_f32_e32 v45, 0x3e9e377a, v1
	ds_read2_b32 v[2:3], v37 offset1:125
	s_waitcnt lgkmcnt(0)
	s_barrier
	ds_write2_b32 v67, v42, v45 offset1:5
	v_sub_f32_e32 v42, v40, v41
	v_sub_f32_e32 v45, v48, v49
	v_add_f32_e32 v42, v42, v45
	v_add_f32_e32 v45, v41, v49
	v_fma_f32 v8, -0.5, v45, v8
	v_fmamk_f32 v45, v46, 0xbf737871, v8
	v_fmac_f32_e32 v8, 0x3f737871, v46
	v_fmac_f32_e32 v43, 0xbf737871, v44
	;; [unrolled: 1-line block ×8, first 2 shown]
	v_add_f32_e32 v1, v105, v84
	v_add_f32_e32 v42, v103, v93
	ds_write2_b32 v67, v45, v8 offset0:10 offset1:15
	v_fma_f32 v1, -0.5, v1, v9
	v_add_f32_e32 v8, v9, v103
	v_fmac_f32_e32 v9, -0.5, v42
	v_sub_f32_e32 v42, v105, v103
	v_sub_f32_e32 v44, v84, v93
	;; [unrolled: 1-line block ×3, first 2 shown]
	v_add_f32_e32 v42, v42, v44
	v_sub_f32_e32 v44, v104, v99
	v_fmamk_f32 v46, v45, 0xbf737871, v9
	v_fmac_f32_e32 v9, 0x3f737871, v45
	v_fmac_f32_e32 v46, 0x3f167918, v44
	;; [unrolled: 1-line block ×5, first 2 shown]
	v_lshlrev_b32_sdwa v42, v62, v55 dst_sel:DWORD dst_unused:UNUSED_PAD src0_sel:DWORD src1_sel:BYTE_0
	v_mul_u32_u24_e32 v47, 0x64, v54
	v_add3_u32 v72, 0, v47, v42
	ds_write_b32 v67, v43 offset:80
	ds_write2_b32 v72, v46, v9 offset0:10 offset1:15
	v_sub_f32_e32 v9, v103, v105
	v_sub_f32_e32 v42, v93, v84
	v_add_f32_e32 v9, v9, v42
	v_fmamk_f32 v42, v44, 0x3f737871, v1
	v_fmac_f32_e32 v1, 0xbf737871, v44
	v_add_f32_e32 v8, v8, v105
	v_fmac_f32_e32 v1, 0xbf167918, v45
	v_add_f32_e32 v8, v8, v84
	v_fmac_f32_e32 v42, 0x3f167918, v45
	v_fmac_f32_e32 v1, 0x3e9e377a, v9
	v_add_f32_e32 v8, v8, v93
	v_fmac_f32_e32 v42, 0x3e9e377a, v9
	ds_write_b32 v72, v1 offset:80
	v_perm_b32 v1, v27, v32, s6
	s_movk_i32 s6, 0x64
	ds_write2_b32 v72, v8, v42 offset1:5
	v_sub_f32_e32 v8, v79, v77
	v_sub_f32_e32 v9, v73, v83
	v_pk_mul_lo_u16 v1, v1, s6 op_sel_hi:[1,0]
	v_add_f32_e32 v8, v8, v9
	v_lshlrev_b32_e32 v9, 2, v33
	v_and_b32_e32 v27, 0xfffc, v1
	v_add_f32_e32 v32, v77, v83
	v_add3_u32 v9, 0, v27, v9
	v_add_f32_e32 v27, v16, v79
	v_fma_f32 v32, -0.5, v32, v16
	v_sub_f32_e32 v33, v102, v29
	v_add_f32_e32 v27, v27, v77
	v_fmamk_f32 v42, v33, 0x3f737871, v32
	v_sub_f32_e32 v43, v78, v30
	v_add_f32_e32 v27, v27, v83
	v_fmac_f32_e32 v42, 0x3f167918, v43
	v_add_f32_e32 v27, v27, v73
	v_fmac_f32_e32 v42, 0x3e9e377a, v8
	ds_write2_b32 v9, v27, v42 offset1:5
	v_add_f32_e32 v27, v79, v73
	v_fmac_f32_e32 v16, -0.5, v27
	v_sub_f32_e32 v27, v77, v79
	v_sub_f32_e32 v42, v83, v73
	v_add_f32_e32 v27, v27, v42
	v_fmamk_f32 v42, v43, 0xbf737871, v16
	v_fmac_f32_e32 v16, 0x3f737871, v43
	v_fmac_f32_e32 v42, 0x3f167918, v33
	;; [unrolled: 1-line block ×7, first 2 shown]
	ds_write2_b32 v9, v42, v16 offset0:10 offset1:15
	v_fmac_f32_e32 v32, 0x3e9e377a, v8
	v_sub_f32_e32 v8, v68, v70
	v_sub_f32_e32 v16, v25, v24
	v_add_f32_e32 v8, v8, v16
	v_lshlrev_b32_e32 v16, 2, v19
	v_lshrrev_b32_e32 v1, 16, v1
	v_add_f32_e32 v19, v70, v24
	v_add3_u32 v1, 0, v1, v16
	v_add_f32_e32 v16, v10, v68
	v_fma_f32 v19, -0.5, v19, v10
	v_sub_f32_e32 v27, v31, v20
	ds_write_b32 v9, v32 offset:80
	v_add_f32_e32 v16, v16, v70
	v_fmamk_f32 v32, v27, 0x3f737871, v19
	v_sub_f32_e32 v33, v76, v18
	v_add_f32_e32 v16, v16, v24
	v_fmac_f32_e32 v32, 0x3f167918, v33
	v_add_f32_e32 v16, v16, v25
	v_fmac_f32_e32 v32, 0x3e9e377a, v8
	ds_write2_b32 v1, v16, v32 offset1:5
	v_add_f32_e32 v16, v68, v25
	v_fmac_f32_e32 v10, -0.5, v16
	v_sub_f32_e32 v16, v70, v68
	v_sub_f32_e32 v32, v24, v25
	v_add_f32_e32 v16, v16, v32
	v_fmamk_f32 v32, v33, 0xbf737871, v10
	v_fmac_f32_e32 v10, 0x3f737871, v33
	v_fmac_f32_e32 v32, 0x3f167918, v27
	;; [unrolled: 1-line block ×5, first 2 shown]
	ds_write2_b32 v1, v32, v10 offset0:10 offset1:15
	v_add_f32_e32 v10, v26, v15
	v_add_f32_e32 v32, v28, v14
	v_fma_f32 v10, -0.5, v10, v4
	v_add_f32_e32 v16, v4, v28
	v_fmac_f32_e32 v4, -0.5, v32
	v_sub_f32_e32 v32, v26, v28
	v_sub_f32_e32 v42, v15, v14
	;; [unrolled: 1-line block ×3, first 2 shown]
	v_add_f32_e32 v32, v32, v42
	v_sub_f32_e32 v42, v23, v11
	v_fmamk_f32 v44, v43, 0xbf737871, v4
	v_fmac_f32_e32 v4, 0x3f737871, v43
	v_fmac_f32_e32 v19, 0xbf737871, v27
	;; [unrolled: 1-line block ×8, first 2 shown]
	ds_write_b32 v1, v19 offset:80
	ds_write2_b32 v6, v44, v4 offset0:10 offset1:15
	v_sub_f32_e32 v4, v28, v26
	v_sub_f32_e32 v7, v14, v15
	v_fmamk_f32 v8, v42, 0x3f737871, v10
	v_fmac_f32_e32 v10, 0xbf737871, v42
	v_add_f32_e32 v4, v4, v7
	v_add_f32_e32 v7, v16, v26
	v_fmac_f32_e32 v10, 0xbf167918, v43
	v_add_f32_e32 v7, v7, v15
	v_fmac_f32_e32 v8, 0x3f167918, v43
	v_fmac_f32_e32 v10, 0x3e9e377a, v4
	v_add_f32_e32 v7, v7, v14
	v_fmac_f32_e32 v8, 0x3e9e377a, v4
	ds_write_b32 v6, v10 offset:80
	v_add_f32_e32 v10, v34, v69
	ds_write2_b32 v6, v7, v8 offset1:5
	v_sub_f32_e32 v7, v41, v49
	v_sub_f32_e32 v16, v5, v34
	;; [unrolled: 1-line block ×3, first 2 shown]
	v_add_f32_e32 v4, v2, v5
	v_fma_f32 v10, -0.5, v10, v2
	v_sub_f32_e32 v8, v40, v48
	v_add_f32_e32 v16, v16, v19
	v_add_f32_e32 v4, v4, v34
	v_fmamk_f32 v19, v7, 0xbf737871, v10
	v_add_f32_e32 v4, v4, v69
	v_fmac_f32_e32 v19, 0xbf167918, v8
	v_add_f32_e32 v4, v4, v71
	v_fmac_f32_e32 v19, 0x3e9e377a, v16
	s_waitcnt lgkmcnt(0)
	s_barrier
	ds_read_b32 v63, v101
	ds_read_b32 v64, v100
	ds_read_b32 v65, v37 offset:12000
	ds_read2_b32 v[42:43], v37 offset1:125
	ds_read2_b32 v[40:41], v88 offset0:116 offset1:241
	ds_read2_b32 v[44:45], v80 offset0:98 offset1:223
	;; [unrolled: 1-line block ×10, first 2 shown]
	s_waitcnt lgkmcnt(0)
	s_barrier
	ds_write2_b32 v67, v4, v19 offset1:5
	v_sub_f32_e32 v4, v34, v5
	v_add_f32_e32 v5, v5, v71
	v_fma_f32 v2, -0.5, v5, v2
	v_sub_f32_e32 v19, v69, v71
	v_fmamk_f32 v5, v8, 0x3f737871, v2
	v_fmac_f32_e32 v2, 0xbf737871, v8
	v_add_f32_e32 v4, v4, v19
	v_fmac_f32_e32 v5, 0xbf167918, v7
	v_fmac_f32_e32 v2, 0x3f167918, v7
	;; [unrolled: 1-line block ×6, first 2 shown]
	ds_write2_b32 v67, v5, v2 offset0:10 offset1:15
	v_fmac_f32_e32 v10, 0x3e9e377a, v16
	v_add_f32_e32 v5, v35, v85
	v_add_f32_e32 v8, v104, v99
	ds_write_b32 v67, v10 offset:80
	v_sub_f32_e32 v4, v105, v84
	v_fma_f32 v5, -0.5, v5, v3
	v_add_f32_e32 v7, v3, v104
	v_fmac_f32_e32 v3, -0.5, v8
	v_sub_f32_e32 v8, v35, v104
	v_sub_f32_e32 v10, v85, v99
	;; [unrolled: 1-line block ×3, first 2 shown]
	v_add_f32_e32 v8, v8, v10
	v_fmamk_f32 v10, v4, 0x3f737871, v3
	v_fmac_f32_e32 v3, 0xbf737871, v4
	v_fmac_f32_e32 v10, 0xbf167918, v2
	;; [unrolled: 1-line block ×5, first 2 shown]
	ds_write2_b32 v72, v10, v3 offset0:10 offset1:15
	v_add_f32_e32 v3, v7, v35
	v_sub_f32_e32 v7, v104, v35
	v_sub_f32_e32 v8, v99, v85
	v_add_f32_e32 v7, v7, v8
	v_fmamk_f32 v8, v2, 0xbf737871, v5
	v_fmac_f32_e32 v5, 0x3f737871, v2
	v_fmac_f32_e32 v5, 0x3f167918, v4
	;; [unrolled: 1-line block ×4, first 2 shown]
	v_add_f32_e32 v3, v3, v85
	v_fmac_f32_e32 v8, 0x3e9e377a, v7
	ds_write_b32 v72, v5 offset:80
	v_sub_f32_e32 v4, v102, v78
	v_sub_f32_e32 v5, v29, v30
	v_add_f32_e32 v7, v78, v30
	v_add_f32_e32 v3, v3, v99
	v_sub_f32_e32 v2, v79, v73
	v_add_f32_e32 v4, v4, v5
	v_add_f32_e32 v5, v22, v102
	v_fma_f32 v7, -0.5, v7, v22
	ds_write2_b32 v72, v3, v8 offset1:5
	v_sub_f32_e32 v3, v77, v83
	v_add_f32_e32 v5, v5, v78
	v_fmamk_f32 v8, v2, 0xbf737871, v7
	v_add_f32_e32 v5, v5, v30
	v_fmac_f32_e32 v8, 0xbf167918, v3
	v_add_f32_e32 v5, v5, v29
	v_fmac_f32_e32 v8, 0x3e9e377a, v4
	ds_write2_b32 v9, v5, v8 offset1:5
	v_add_f32_e32 v5, v102, v29
	v_fmac_f32_e32 v22, -0.5, v5
	v_sub_f32_e32 v5, v78, v102
	v_sub_f32_e32 v8, v30, v29
	v_fmac_f32_e32 v7, 0x3f737871, v2
	v_add_f32_e32 v5, v5, v8
	v_fmamk_f32 v8, v3, 0x3f737871, v22
	v_fmac_f32_e32 v22, 0xbf737871, v3
	v_fmac_f32_e32 v7, 0x3f167918, v3
	v_fmac_f32_e32 v8, 0xbf167918, v2
	v_fmac_f32_e32 v22, 0x3f167918, v2
	v_fmac_f32_e32 v7, 0x3e9e377a, v4
	v_fmac_f32_e32 v8, 0x3e9e377a, v5
	v_fmac_f32_e32 v22, 0x3e9e377a, v5
	ds_write_b32 v9, v7 offset:80
	v_sub_f32_e32 v4, v31, v76
	v_sub_f32_e32 v5, v20, v18
	v_add_f32_e32 v7, v76, v18
	v_sub_f32_e32 v2, v68, v25
	v_add_f32_e32 v4, v4, v5
	v_add_f32_e32 v5, v13, v31
	v_fma_f32 v7, -0.5, v7, v13
	ds_write2_b32 v9, v8, v22 offset0:10 offset1:15
	v_sub_f32_e32 v3, v70, v24
	v_add_f32_e32 v5, v5, v76
	v_fmamk_f32 v8, v2, 0xbf737871, v7
	v_add_f32_e32 v5, v5, v18
	v_fmac_f32_e32 v8, 0xbf167918, v3
	v_add_f32_e32 v5, v5, v20
	v_fmac_f32_e32 v8, 0x3e9e377a, v4
	ds_write2_b32 v1, v5, v8 offset1:5
	v_add_f32_e32 v5, v31, v20
	v_fmac_f32_e32 v13, -0.5, v5
	v_sub_f32_e32 v5, v76, v31
	v_sub_f32_e32 v8, v18, v20
	v_add_f32_e32 v5, v5, v8
	v_fmamk_f32 v8, v3, 0x3f737871, v13
	v_fmac_f32_e32 v13, 0xbf737871, v3
	v_sub_f32_e32 v9, v23, v21
	v_sub_f32_e32 v10, v11, v12
	v_fmac_f32_e32 v8, 0xbf167918, v2
	v_fmac_f32_e32 v13, 0x3f167918, v2
	v_add_f32_e32 v9, v9, v10
	v_add_f32_e32 v10, v21, v12
	v_fmac_f32_e32 v8, 0x3e9e377a, v5
	v_fmac_f32_e32 v13, 0x3e9e377a, v5
	v_sub_f32_e32 v5, v28, v14
	v_fma_f32 v10, -0.5, v10, v0
	ds_write2_b32 v1, v8, v13 offset0:10 offset1:15
	v_sub_f32_e32 v8, v26, v15
	v_fmamk_f32 v13, v5, 0xbf737871, v10
	v_fmac_f32_e32 v10, 0x3f737871, v5
	v_fmac_f32_e32 v13, 0xbf167918, v8
	;; [unrolled: 1-line block ×5, first 2 shown]
	v_add_f32_e32 v9, v0, v23
	v_add_f32_e32 v14, v23, v11
	;; [unrolled: 1-line block ×3, first 2 shown]
	v_fmac_f32_e32 v0, -0.5, v14
	v_add_f32_e32 v9, v9, v12
	v_sub_f32_e32 v14, v21, v23
	v_add_f32_e32 v9, v9, v11
	v_sub_f32_e32 v11, v12, v11
	v_fmamk_f32 v12, v8, 0x3f737871, v0
	v_fmac_f32_e32 v0, 0xbf737871, v8
	v_fmac_f32_e32 v7, 0x3f737871, v2
	v_add_f32_e32 v11, v14, v11
	v_fmac_f32_e32 v0, 0x3f167918, v5
	v_fmac_f32_e32 v7, 0x3f167918, v3
	;; [unrolled: 1-line block ×5, first 2 shown]
	s_movk_i32 s6, 0x47af
	v_fmac_f32_e32 v12, 0x3e9e377a, v11
	ds_write_b32 v1, v7 offset:80
	ds_write2_b32 v6, v9, v13 offset1:5
	ds_write2_b32 v6, v12, v0 offset0:10 offset1:15
	ds_write_b32 v6, v10 offset:80
	v_mul_u32_u24_sdwa v0, v74, s6 dst_sel:DWORD dst_unused:UNUSED_PAD src0_sel:WORD_0 src1_sel:DWORD
	v_sub_u16_sdwa v1, v74, v0 dst_sel:DWORD dst_unused:UNUSED_PAD src0_sel:DWORD src1_sel:WORD_1
	v_lshrrev_b16_e32 v1, 1, v1
	v_add_u16_sdwa v0, v1, v0 dst_sel:DWORD dst_unused:UNUSED_PAD src0_sel:DWORD src1_sel:WORD_1
	v_lshrrev_b16_e32 v67, 4, v0
	v_mul_lo_u16_e32 v0, 25, v67
	v_sub_u16_e32 v68, v74, v0
	v_lshlrev_b32_e32 v79, 5, v68
	s_waitcnt lgkmcnt(0)
	s_barrier
	global_load_dwordx4 v[0:3], v79, s[4:5] offset:176
	v_mul_u32_u24_sdwa v4, v86, s6 dst_sel:DWORD dst_unused:UNUSED_PAD src0_sel:WORD_0 src1_sel:DWORD
	v_sub_u16_sdwa v5, v86, v4 dst_sel:DWORD dst_unused:UNUSED_PAD src0_sel:DWORD src1_sel:WORD_1
	v_lshrrev_b16_e32 v5, 1, v5
	v_add_u16_sdwa v4, v5, v4 dst_sel:DWORD dst_unused:UNUSED_PAD src0_sel:DWORD src1_sel:WORD_1
	v_lshrrev_b16_e32 v69, 4, v4
	v_mul_lo_u16_e32 v4, 25, v69
	v_mul_u32_u24_sdwa v8, v75, s6 dst_sel:DWORD dst_unused:UNUSED_PAD src0_sel:WORD_0 src1_sel:DWORD
	v_sub_u16_e32 v70, v86, v4
	v_sub_u16_sdwa v9, v75, v8 dst_sel:DWORD dst_unused:UNUSED_PAD src0_sel:DWORD src1_sel:WORD_1
	v_lshlrev_b32_e32 v83, 5, v70
	global_load_dwordx4 v[4:7], v83, s[4:5] offset:176
	v_lshrrev_b16_e32 v9, 1, v9
	v_add_u16_sdwa v8, v9, v8 dst_sel:DWORD dst_unused:UNUSED_PAD src0_sel:DWORD src1_sel:WORD_1
	v_lshrrev_b16_e32 v71, 4, v8
	v_mul_lo_u16_e32 v8, 25, v71
	v_sub_u16_e32 v72, v75, v8
	v_lshlrev_b32_e32 v84, 5, v72
	global_load_dwordx4 v[8:11], v84, s[4:5] offset:176
	v_mov_b32_e32 v16, 41
	v_mul_lo_u16_sdwa v12, v66, v16 dst_sel:DWORD dst_unused:UNUSED_PAD src0_sel:BYTE_0 src1_sel:DWORD
	v_lshrrev_b16_e32 v73, 10, v12
	v_mul_lo_u16_e32 v12, 25, v73
	v_sub_u16_e32 v76, v66, v12
	v_lshlrev_b32_sdwa v85, v17, v76 dst_sel:DWORD dst_unused:UNUSED_PAD src0_sel:DWORD src1_sel:BYTE_0
	global_load_dwordx4 v[12:15], v85, s[4:5] offset:176
	v_mul_lo_u16_sdwa v16, v36, v16 dst_sel:DWORD dst_unused:UNUSED_PAD src0_sel:BYTE_0 src1_sel:DWORD
	v_lshrrev_b16_e32 v77, 10, v16
	v_mul_lo_u16_e32 v16, 25, v77
	v_sub_u16_e32 v78, v36, v16
	v_lshlrev_b32_sdwa v93, v17, v78 dst_sel:DWORD dst_unused:UNUSED_PAD src0_sel:DWORD src1_sel:BYTE_0
	global_load_dwordx4 v[16:19], v93, s[4:5] offset:176
	global_load_dwordx4 v[20:23], v79, s[4:5] offset:160
	;; [unrolled: 1-line block ×5, first 2 shown]
	ds_read_b32 v79, v37 offset:12000
	ds_read_b32 v83, v101
	ds_read_b32 v99, v100
	ds_read2_b32 v[84:85], v98 offset0:74 offset1:199
	s_movk_i32 s6, 0x625
	s_waitcnt vmcnt(8) lgkmcnt(3)
	v_mul_f32_e32 v102, v79, v3
	v_fma_f32 v106, v65, v2, -v102
	global_load_dwordx4 v[102:105], v93, s[4:5] offset:160
	v_mul_f32_e32 v65, v65, v3
	v_fmac_f32_e32 v65, v79, v2
	s_waitcnt lgkmcnt(0)
	v_mul_f32_e32 v2, v85, v1
	v_fma_f32 v79, v61, v0, -v2
	v_mul_f32_e32 v61, v61, v1
	v_fmac_f32_e32 v61, v85, v0
	ds_read2_b32 v[0:1], v94 offset0:62 offset1:187
	s_waitcnt vmcnt(8)
	v_mul_f32_e32 v2, v84, v5
	v_fma_f32 v85, v60, v4, -v2
	v_mul_f32_e32 v60, v60, v5
	s_waitcnt lgkmcnt(0)
	v_mul_f32_e32 v2, v1, v7
	v_fmac_f32_e32 v60, v84, v4
	v_fma_f32 v84, v59, v6, -v2
	ds_read2_b32 v[2:3], v90 offset0:80 offset1:205
	v_mul_f32_e32 v59, v59, v7
	v_fmac_f32_e32 v59, v1, v6
	s_waitcnt vmcnt(7)
	v_mul_f32_e32 v1, v0, v11
	v_fma_f32 v93, v58, v10, -v1
	v_mul_f32_e32 v58, v58, v11
	v_fmac_f32_e32 v58, v0, v10
	s_waitcnt lgkmcnt(0)
	v_mul_f32_e32 v0, v3, v9
	v_fma_f32 v107, v57, v8, -v0
	ds_read2_b32 v[0:1], v81 offset0:68 offset1:193
	v_mul_f32_e32 v57, v57, v9
	v_fmac_f32_e32 v57, v3, v8
	s_waitcnt vmcnt(6)
	v_mul_f32_e32 v3, v2, v13
	v_fma_f32 v108, v56, v12, -v3
	v_mul_f32_e32 v56, v56, v13
	v_fmac_f32_e32 v56, v2, v12
	s_waitcnt lgkmcnt(0)
	v_mul_f32_e32 v2, v1, v15
	;; [unrolled: 11-line block ×5, first 2 shown]
	v_fma_f32 v113, v49, v26, -v0
	ds_read2_b32 v[0:1], v89 offset0:110 offset1:235
	v_mul_f32_e32 v27, v49, v27
	v_fmac_f32_e32 v27, v3, v26
	s_waitcnt vmcnt(2)
	v_mul_f32_e32 v3, v2, v31
	v_mul_f32_e32 v31, v48, v31
	v_fmac_f32_e32 v31, v2, v30
	s_waitcnt lgkmcnt(0)
	v_mul_f32_e32 v2, v1, v29
	v_fma_f32 v26, v48, v30, -v3
	v_fma_f32 v30, v47, v28, -v2
	ds_read2_b32 v[2:3], v80 offset0:98 offset1:223
	v_mul_f32_e32 v47, v47, v29
	v_fmac_f32_e32 v47, v1, v28
	s_waitcnt vmcnt(1)
	v_mul_f32_e32 v1, v0, v33
	v_mul_f32_e32 v33, v46, v33
	v_fmac_f32_e32 v33, v0, v32
	s_waitcnt lgkmcnt(0)
	v_mul_f32_e32 v0, v3, v35
	v_fma_f32 v48, v46, v32, -v1
	;; [unrolled: 11-line block ×3, first 2 shown]
	v_fma_f32 v7, v41, v102, -v2
	v_mul_f32_e32 v41, v41, v103
	v_fmac_f32_e32 v41, v1, v102
	v_sub_f32_e32 v1, v7, v6
	v_sub_f32_e32 v2, v4, v5
	v_add_f32_e32 v1, v1, v2
	v_lshlrev_b32_sdwa v2, v62, v78 dst_sel:DWORD dst_unused:UNUSED_PAD src0_sel:DWORD src1_sel:BYTE_0
	v_mul_u32_u24_e32 v3, 0x1f4, v77
	v_add3_u32 v44, 0, v3, v2
	v_add_f32_e32 v2, v42, v7
	v_add_f32_e32 v2, v2, v6
	;; [unrolled: 1-line block ×5, first 2 shown]
	v_fma_f32 v9, -0.5, v2, v42
	v_sub_f32_e32 v10, v41, v54
	v_fmamk_f32 v11, v10, 0x3f737871, v9
	v_sub_f32_e32 v12, v34, v53
	v_fmac_f32_e32 v11, 0x3f167918, v12
	v_fmac_f32_e32 v11, 0x3e9e377a, v1
	ds_read2_b32 v[2:3], v37 offset1:125
	s_waitcnt lgkmcnt(0)
	s_barrier
	ds_write2_b32 v44, v8, v11 offset1:25
	v_sub_f32_e32 v8, v6, v7
	v_sub_f32_e32 v11, v5, v4
	v_add_f32_e32 v8, v8, v11
	v_add_f32_e32 v11, v7, v4
	v_fma_f32 v11, -0.5, v11, v42
	v_fmamk_f32 v13, v12, 0xbf737871, v11
	v_fmac_f32_e32 v11, 0x3f737871, v12
	v_fmac_f32_e32 v13, 0x3f167918, v10
	;; [unrolled: 1-line block ×7, first 2 shown]
	ds_write2_b32 v44, v13, v11 offset0:50 offset1:75
	v_fmac_f32_e32 v9, 0x3e9e377a, v1
	v_add_f32_e32 v1, v32, v108
	v_add_f32_e32 v11, v48, v109
	v_lshlrev_b32_sdwa v8, v62, v76 dst_sel:DWORD dst_unused:UNUSED_PAD src0_sel:DWORD src1_sel:BYTE_0
	v_fma_f32 v1, -0.5, v1, v43
	v_add_f32_e32 v10, v43, v48
	v_fmac_f32_e32 v43, -0.5, v11
	v_sub_f32_e32 v11, v32, v48
	v_sub_f32_e32 v12, v108, v109
	ds_write_b32 v44, v9 offset:400
	v_mul_u32_u24_e32 v9, 0x1f4, v73
	v_add_f32_e32 v11, v11, v12
	v_sub_f32_e32 v12, v33, v55
	v_add3_u32 v42, 0, v9, v8
	v_sub_f32_e32 v8, v48, v32
	v_sub_f32_e32 v9, v109, v108
	;; [unrolled: 1-line block ×3, first 2 shown]
	v_add_f32_e32 v8, v8, v9
	v_add_f32_e32 v9, v10, v32
	v_fmamk_f32 v10, v12, 0x3f737871, v1
	v_add_f32_e32 v9, v9, v108
	v_fmac_f32_e32 v10, 0x3f167918, v13
	v_fmac_f32_e32 v1, 0xbf737871, v12
	v_add_f32_e32 v9, v9, v109
	v_fmac_f32_e32 v10, 0x3e9e377a, v8
	v_fmac_f32_e32 v1, 0xbf167918, v13
	v_fmamk_f32 v14, v13, 0xbf737871, v43
	v_fmac_f32_e32 v43, 0x3f737871, v13
	ds_write2_b32 v42, v9, v10 offset1:25
	v_fmac_f32_e32 v1, 0x3e9e377a, v8
	v_sub_f32_e32 v8, v30, v26
	v_sub_f32_e32 v9, v93, v107
	v_fmac_f32_e32 v14, 0x3f167918, v12
	v_fmac_f32_e32 v43, 0xbf167918, v12
	v_add_f32_e32 v8, v8, v9
	ds_write_b32 v42, v1 offset:400
	v_lshlrev_b32_e32 v1, 2, v72
	v_mul_u32_u24_e32 v9, 0x1f4, v71
	v_add_f32_e32 v10, v26, v107
	v_fmac_f32_e32 v14, 0x3e9e377a, v11
	v_fmac_f32_e32 v43, 0x3e9e377a, v11
	v_add3_u32 v1, 0, v9, v1
	v_add_f32_e32 v9, v64, v30
	v_fma_f32 v10, -0.5, v10, v64
	v_sub_f32_e32 v11, v47, v58
	v_add_f32_e32 v9, v9, v26
	v_fmamk_f32 v12, v11, 0x3f737871, v10
	v_sub_f32_e32 v13, v31, v57
	v_add_f32_e32 v9, v9, v107
	v_fmac_f32_e32 v12, 0x3f167918, v13
	v_add_f32_e32 v9, v9, v93
	v_fmac_f32_e32 v12, 0x3e9e377a, v8
	ds_write2_b32 v42, v14, v43 offset0:50 offset1:75
	ds_write2_b32 v1, v9, v12 offset1:25
	v_add_f32_e32 v9, v30, v93
	v_fmac_f32_e32 v64, -0.5, v9
	v_sub_f32_e32 v9, v26, v30
	v_sub_f32_e32 v12, v107, v93
	v_add_f32_e32 v9, v9, v12
	v_fmamk_f32 v12, v13, 0xbf737871, v64
	v_fmac_f32_e32 v64, 0x3f737871, v13
	v_fmac_f32_e32 v10, 0xbf737871, v11
	;; [unrolled: 1-line block ×8, first 2 shown]
	v_sub_f32_e32 v8, v112, v113
	v_sub_f32_e32 v9, v84, v85
	v_add_f32_e32 v8, v8, v9
	ds_write_b32 v1, v10 offset:400
	v_lshlrev_b32_e32 v9, 2, v70
	v_mul_u32_u24_e32 v10, 0x1f4, v69
	v_add3_u32 v43, 0, v10, v9
	v_add_f32_e32 v10, v113, v85
	v_add_f32_e32 v9, v63, v112
	v_fma_f32 v10, -0.5, v10, v63
	v_sub_f32_e32 v11, v50, v59
	ds_write2_b32 v1, v12, v64 offset0:50 offset1:75
	v_add_f32_e32 v9, v9, v113
	v_fmamk_f32 v12, v11, 0x3f737871, v10
	v_sub_f32_e32 v13, v27, v60
	v_add_f32_e32 v9, v9, v85
	v_fmac_f32_e32 v12, 0x3f167918, v13
	v_add_f32_e32 v9, v9, v84
	v_fmac_f32_e32 v12, 0x3e9e377a, v8
	ds_write2_b32 v43, v9, v12 offset1:25
	v_add_f32_e32 v9, v112, v84
	v_fmac_f32_e32 v63, -0.5, v9
	v_sub_f32_e32 v9, v113, v112
	v_sub_f32_e32 v12, v85, v84
	v_add_f32_e32 v9, v9, v12
	v_fmamk_f32 v12, v13, 0xbf737871, v63
	v_fmac_f32_e32 v63, 0x3f737871, v13
	v_fmac_f32_e32 v10, 0xbf737871, v11
	;; [unrolled: 1-line block ×8, first 2 shown]
	v_add_f32_e32 v8, v110, v79
	v_add_f32_e32 v11, v111, v106
	ds_write2_b32 v43, v12, v63 offset0:50 offset1:75
	v_fma_f32 v8, -0.5, v8, v40
	v_add_f32_e32 v9, v40, v111
	v_fmac_f32_e32 v40, -0.5, v11
	v_sub_f32_e32 v11, v110, v111
	v_sub_f32_e32 v12, v79, v106
	;; [unrolled: 1-line block ×3, first 2 shown]
	v_add_f32_e32 v11, v11, v12
	v_sub_f32_e32 v12, v51, v65
	v_fmamk_f32 v14, v13, 0xbf737871, v40
	v_fmac_f32_e32 v40, 0x3f737871, v13
	v_fmac_f32_e32 v14, 0x3f167918, v12
	;; [unrolled: 1-line block ×5, first 2 shown]
	ds_write_b32 v43, v10 offset:400
	v_lshlrev_b32_e32 v10, 2, v68
	v_mul_u32_u24_e32 v11, 0x1f4, v67
	v_add3_u32 v45, 0, v11, v10
	ds_write2_b32 v45, v14, v40 offset0:50 offset1:75
	v_sub_f32_e32 v40, v7, v4
	v_sub_f32_e32 v46, v6, v5
	;; [unrolled: 1-line block ×4, first 2 shown]
	v_add_f32_e32 v49, v4, v5
	v_add_f32_e32 v4, v2, v41
	;; [unrolled: 1-line block ×6, first 2 shown]
	v_sub_f32_e32 v34, v34, v41
	v_add_f32_e32 v41, v41, v54
	v_sub_f32_e32 v10, v111, v110
	v_sub_f32_e32 v11, v106, v79
	v_fma_f32 v63, -0.5, v4, v2
	v_fma_f32 v2, -0.5, v41, v2
	v_add_f32_e32 v10, v10, v11
	v_add_f32_e32 v9, v9, v110
	v_fmamk_f32 v11, v12, 0x3f737871, v8
	v_fmac_f32_e32 v8, 0xbf737871, v12
	v_sub_f32_e32 v53, v53, v54
	v_fmamk_f32 v41, v46, 0x3f737871, v2
	v_fmac_f32_e32 v2, 0xbf737871, v46
	v_add_f32_e32 v9, v9, v79
	v_fmac_f32_e32 v11, 0x3f167918, v13
	v_fmac_f32_e32 v8, 0xbf167918, v13
	v_fmamk_f32 v64, v40, 0xbf737871, v63
	v_add_f32_e32 v34, v34, v53
	v_fmac_f32_e32 v41, 0xbf167918, v40
	v_fmac_f32_e32 v2, 0x3f167918, v40
	;; [unrolled: 1-line block ×3, first 2 shown]
	v_add_f32_e32 v9, v9, v106
	v_fmac_f32_e32 v11, 0x3e9e377a, v10
	v_fmac_f32_e32 v8, 0x3e9e377a, v10
	;; [unrolled: 1-line block ×6, first 2 shown]
	ds_write2_b32 v45, v9, v11 offset1:25
	ds_write_b32 v45, v8 offset:400
	v_fmac_f32_e32 v64, 0x3e9e377a, v49
	s_waitcnt lgkmcnt(0)
	s_barrier
	ds_read_b32 v28, v101
	ds_read_b32 v29, v100
	ds_read_b32 v67, v37 offset:12000
	ds_read2_b32 v[6:7], v37 offset1:125
	ds_read2_b32 v[4:5], v88 offset0:116 offset1:241
	ds_read2_b32 v[8:9], v80 offset0:98 offset1:223
	;; [unrolled: 1-line block ×10, first 2 shown]
	s_waitcnt lgkmcnt(0)
	s_barrier
	ds_write2_b32 v44, v41, v2 offset0:50 offset1:75
	v_fmac_f32_e32 v63, 0x3e9e377a, v49
	v_add_f32_e32 v34, v35, v56
	v_add_f32_e32 v41, v33, v55
	ds_write2_b32 v44, v62, v64 offset1:25
	ds_write_b32 v44, v63 offset:400
	v_sub_f32_e32 v32, v32, v108
	v_fma_f32 v34, -0.5, v34, v3
	v_add_f32_e32 v40, v3, v33
	v_fmac_f32_e32 v3, -0.5, v41
	v_sub_f32_e32 v41, v35, v33
	v_sub_f32_e32 v44, v56, v55
	;; [unrolled: 1-line block ×3, first 2 shown]
	v_add_f32_e32 v41, v41, v44
	v_fmamk_f32 v44, v32, 0x3f737871, v3
	v_fmac_f32_e32 v3, 0xbf737871, v32
	v_fmac_f32_e32 v44, 0xbf167918, v2
	;; [unrolled: 1-line block ×5, first 2 shown]
	ds_write2_b32 v42, v44, v3 offset0:50 offset1:75
	v_add_f32_e32 v3, v40, v35
	v_sub_f32_e32 v33, v33, v35
	v_sub_f32_e32 v35, v55, v56
	v_add_f32_e32 v33, v33, v35
	v_fmamk_f32 v35, v2, 0xbf737871, v34
	v_add_f32_e32 v3, v3, v56
	v_fmac_f32_e32 v35, 0xbf167918, v32
	v_add_f32_e32 v3, v3, v55
	v_fmac_f32_e32 v35, 0x3e9e377a, v33
	v_fmac_f32_e32 v34, 0x3f737871, v2
	ds_write2_b32 v42, v3, v35 offset1:25
	v_fmac_f32_e32 v34, 0x3f167918, v32
	v_sub_f32_e32 v2, v30, v93
	v_sub_f32_e32 v3, v26, v107
	;; [unrolled: 1-line block ×4, first 2 shown]
	v_add_f32_e32 v32, v31, v57
	v_add_f32_e32 v26, v26, v30
	;; [unrolled: 1-line block ×3, first 2 shown]
	v_fma_f32 v32, -0.5, v32, v99
	v_fmac_f32_e32 v34, 0x3e9e377a, v33
	v_add_f32_e32 v30, v30, v31
	v_fmamk_f32 v33, v2, 0xbf737871, v32
	v_add_f32_e32 v30, v30, v57
	v_fmac_f32_e32 v33, 0xbf167918, v3
	v_add_f32_e32 v30, v30, v58
	v_fmac_f32_e32 v33, 0x3e9e377a, v26
	ds_write_b32 v42, v34 offset:400
	ds_write2_b32 v1, v30, v33 offset1:25
	v_add_f32_e32 v30, v47, v58
	v_fmac_f32_e32 v99, -0.5, v30
	v_sub_f32_e32 v30, v31, v47
	v_sub_f32_e32 v31, v57, v58
	v_add_f32_e32 v30, v30, v31
	v_fmamk_f32 v31, v3, 0x3f737871, v99
	v_fmac_f32_e32 v99, 0xbf737871, v3
	v_fmac_f32_e32 v32, 0x3f737871, v2
	;; [unrolled: 1-line block ×8, first 2 shown]
	v_sub_f32_e32 v3, v50, v27
	v_sub_f32_e32 v26, v59, v60
	v_add_f32_e32 v30, v27, v60
	ds_write2_b32 v1, v31, v99 offset0:50 offset1:75
	ds_write_b32 v1, v32 offset:400
	v_sub_f32_e32 v1, v112, v84
	v_add_f32_e32 v3, v3, v26
	v_add_f32_e32 v26, v83, v50
	v_fma_f32 v30, -0.5, v30, v83
	v_sub_f32_e32 v2, v113, v85
	v_add_f32_e32 v26, v26, v27
	v_fmamk_f32 v31, v1, 0xbf737871, v30
	v_fmac_f32_e32 v30, 0x3f737871, v1
	v_add_f32_e32 v26, v26, v60
	v_fmac_f32_e32 v31, 0xbf167918, v2
	v_fmac_f32_e32 v30, 0x3f167918, v2
	v_add_f32_e32 v26, v26, v59
	v_fmac_f32_e32 v31, 0x3e9e377a, v3
	v_fmac_f32_e32 v30, 0x3e9e377a, v3
	v_add_f32_e32 v3, v50, v59
	ds_write2_b32 v43, v26, v31 offset1:25
	v_fmac_f32_e32 v83, -0.5, v3
	v_sub_f32_e32 v3, v27, v50
	v_sub_f32_e32 v26, v60, v59
	v_add_f32_e32 v3, v3, v26
	v_fmamk_f32 v26, v2, 0x3f737871, v83
	v_fmac_f32_e32 v83, 0xbf737871, v2
	v_fmac_f32_e32 v26, 0xbf167918, v1
	;; [unrolled: 1-line block ×5, first 2 shown]
	v_sub_f32_e32 v3, v51, v52
	v_sub_f32_e32 v27, v65, v61
	v_add_f32_e32 v3, v3, v27
	v_add_f32_e32 v27, v52, v61
	v_sub_f32_e32 v1, v111, v106
	v_fma_f32 v27, -0.5, v27, v0
	v_sub_f32_e32 v2, v110, v79
	v_fmamk_f32 v31, v1, 0xbf737871, v27
	v_fmac_f32_e32 v27, 0x3f737871, v1
	v_fmac_f32_e32 v31, 0xbf167918, v2
	;; [unrolled: 1-line block ×3, first 2 shown]
	v_add_f32_e32 v32, v51, v65
	v_fmac_f32_e32 v31, 0x3e9e377a, v3
	v_fmac_f32_e32 v27, 0x3e9e377a, v3
	v_add_f32_e32 v3, v0, v51
	v_fmac_f32_e32 v0, -0.5, v32
	v_sub_f32_e32 v32, v52, v51
	v_sub_f32_e32 v33, v61, v65
	v_add_f32_e32 v32, v32, v33
	v_fmamk_f32 v33, v2, 0x3f737871, v0
	v_fmac_f32_e32 v0, 0xbf737871, v2
	v_add_f32_e32 v3, v3, v52
	v_fmac_f32_e32 v0, 0x3f167918, v1
	v_add_f32_e32 v3, v3, v61
	v_fmac_f32_e32 v33, 0xbf167918, v1
	v_fmac_f32_e32 v0, 0x3e9e377a, v32
	v_add_f32_e32 v3, v3, v65
	v_fmac_f32_e32 v33, 0x3e9e377a, v32
	ds_write2_b32 v43, v26, v83 offset0:50 offset1:75
	ds_write_b32 v43, v30 offset:400
	ds_write2_b32 v45, v3, v31 offset1:25
	ds_write2_b32 v45, v33, v0 offset0:50 offset1:75
	ds_write_b32 v45, v27 offset:400
	v_mul_u32_u24_sdwa v0, v74, s6 dst_sel:DWORD dst_unused:UNUSED_PAD src0_sel:WORD_0 src1_sel:DWORD
	v_sub_u16_sdwa v1, v74, v0 dst_sel:DWORD dst_unused:UNUSED_PAD src0_sel:DWORD src1_sel:WORD_1
	v_lshrrev_b16_e32 v1, 1, v1
	v_add_u16_sdwa v0, v1, v0 dst_sel:DWORD dst_unused:UNUSED_PAD src0_sel:DWORD src1_sel:WORD_1
	v_lshrrev_b16_e32 v0, 6, v0
	v_mul_lo_u16_e32 v0, 0x7d, v0
	v_sub_u16_e32 v31, v74, v0
	v_lshlrev_b32_e32 v26, 5, v31
	s_waitcnt lgkmcnt(0)
	s_barrier
	global_load_dwordx4 v[44:47], v26, s[4:5] offset:976
	v_mul_u32_u24_sdwa v0, v86, s6 dst_sel:DWORD dst_unused:UNUSED_PAD src0_sel:WORD_0 src1_sel:DWORD
	v_sub_u16_sdwa v1, v86, v0 dst_sel:DWORD dst_unused:UNUSED_PAD src0_sel:DWORD src1_sel:WORD_1
	v_lshrrev_b16_e32 v1, 1, v1
	v_add_u16_sdwa v0, v1, v0 dst_sel:DWORD dst_unused:UNUSED_PAD src0_sel:DWORD src1_sel:WORD_1
	v_lshrrev_b16_e32 v0, 6, v0
	v_mul_lo_u16_e32 v0, 0x7d, v0
	v_sub_u16_e32 v30, v86, v0
	v_mul_u32_u24_sdwa v0, v75, s6 dst_sel:DWORD dst_unused:UNUSED_PAD src0_sel:WORD_0 src1_sel:DWORD
	v_lshlrev_b32_e32 v27, 5, v30
	global_load_dwordx4 v[48:51], v27, s[4:5] offset:976
	v_sub_u16_sdwa v1, v75, v0 dst_sel:DWORD dst_unused:UNUSED_PAD src0_sel:DWORD src1_sel:WORD_1
	v_lshrrev_b16_e32 v1, 1, v1
	v_add_u16_sdwa v0, v1, v0 dst_sel:DWORD dst_unused:UNUSED_PAD src0_sel:DWORD src1_sel:WORD_1
	v_lshrrev_b16_e32 v0, 6, v0
	v_mul_lo_u16_e32 v0, 0x7d, v0
	v_sub_u16_e32 v42, v75, v0
	v_lshlrev_b32_e32 v32, 5, v42
	global_load_dwordx4 v[58:61], v32, s[4:5] offset:976
	v_lshlrev_b32_e32 v0, 2, v36
	v_mov_b32_e32 v1, 0
	v_lshl_add_u64 v[2:3], v[0:1], 3, s[4:5]
	global_load_dwordx4 v[70:73], v[2:3], off offset:976
	global_load_dwordx4 v[76:79], v26, s[4:5] offset:960
	global_load_dwordx4 v[102:105], v27, s[4:5] offset:960
	;; [unrolled: 1-line block ×3, first 2 shown]
	global_load_dwordx4 v[110:113], v[2:3], off offset:960
	ds_read_b32 v32, v37 offset:12000
	ds_read2_b32 v[26:27], v98 offset0:74 offset1:199
	v_lshl_add_u32 v84, v42, 2, 0
	v_add_u32_e32 v85, 0x1200, v84
	v_add_u32_e32 v93, 0x1600, v84
	v_lshl_add_u32 v99, v30, 2, 0
	s_waitcnt vmcnt(7) lgkmcnt(1)
	v_mul_f32_e32 v0, v32, v47
	v_fma_f32 v33, v67, v46, -v0
	v_mul_f32_e32 v0, v67, v47
	v_fmac_f32_e32 v0, v32, v46
	s_waitcnt lgkmcnt(0)
	v_mul_f32_e32 v32, v27, v45
	v_fma_f32 v34, v25, v44, -v32
	v_mul_f32_e32 v32, v25, v45
	v_fmac_f32_e32 v32, v27, v44
	ds_read2_b32 v[44:45], v94 offset0:62 offset1:187
	s_waitcnt vmcnt(6)
	v_mul_f32_e32 v25, v26, v49
	v_fma_f32 v41, v24, v48, -v25
	v_mul_f32_e32 v35, v24, v49
	s_waitcnt lgkmcnt(0)
	v_mul_f32_e32 v24, v45, v51
	v_fma_f32 v49, v23, v50, -v24
	ds_read2_b32 v[24:25], v90 offset0:80 offset1:205
	v_fmac_f32_e32 v35, v26, v48
	ds_read2_b32 v[26:27], v81 offset0:68 offset1:193
	v_mul_f32_e32 v40, v23, v51
	s_waitcnt vmcnt(5)
	v_mul_f32_e32 v23, v44, v61
	v_fma_f32 v54, v22, v60, -v23
	v_mul_f32_e32 v51, v22, v61
	s_waitcnt lgkmcnt(1)
	v_mul_f32_e32 v22, v25, v59
	v_fma_f32 v56, v21, v58, -v22
	v_mul_f32_e32 v52, v21, v59
	s_waitcnt vmcnt(4)
	v_mul_f32_e32 v21, v24, v71
	v_fma_f32 v65, v20, v70, -v21
	v_mul_f32_e32 v59, v20, v71
	s_waitcnt lgkmcnt(0)
	v_mul_f32_e32 v20, v26, v73
	v_fma_f32 v22, v18, v72, -v20
	v_mul_f32_e32 v20, v27, v73
	v_fma_f32 v68, v19, v72, -v20
	ds_read2_b32 v[20:21], v91 offset0:86 offset1:211
	v_fmac_f32_e32 v52, v25, v58
	v_fmac_f32_e32 v59, v24, v70
	ds_read2_b32 v[24:25], v97 offset0:104 offset1:229
	v_mul_f32_e32 v61, v18, v73
	s_waitcnt lgkmcnt(1)
	v_mul_f32_e32 v18, v21, v71
	v_fma_f32 v18, v17, v70, -v18
	v_mul_f32_e32 v63, v17, v71
	s_waitcnt vmcnt(3)
	v_mul_f32_e32 v17, v20, v79
	v_fma_f32 v48, v16, v78, -v17
	v_mul_f32_e32 v23, v16, v79
	s_waitcnt lgkmcnt(0)
	v_mul_f32_e32 v16, v25, v77
	v_fmac_f32_e32 v40, v45, v50
	v_fma_f32 v50, v15, v76, -v16
	ds_read2_b32 v[16:17], v92 offset0:92 offset1:217
	v_fmac_f32_e32 v63, v21, v70
	v_fmac_f32_e32 v23, v20, v78
	ds_read2_b32 v[20:21], v89 offset0:110 offset1:235
	v_fmac_f32_e32 v51, v44, v60
	v_mul_f32_e32 v60, v19, v73
	s_waitcnt vmcnt(2)
	v_mul_f32_e32 v19, v24, v103
	v_fma_f32 v57, v14, v102, -v19
	v_mul_f32_e32 v53, v14, v103
	s_waitcnt lgkmcnt(1)
	v_mul_f32_e32 v14, v17, v105
	v_fma_f32 v58, v13, v104, -v14
	v_mul_f32_e32 v55, v13, v105
	s_waitcnt vmcnt(1)
	v_mul_f32_e32 v13, v16, v109
	v_fma_f32 v64, v12, v108, -v13
	v_mul_f32_e32 v62, v12, v109
	s_waitcnt lgkmcnt(0)
	v_mul_f32_e32 v12, v21, v107
	v_fmac_f32_e32 v61, v26, v72
	v_fmac_f32_e32 v60, v27, v72
	v_fma_f32 v67, v11, v106, -v12
	v_mul_f32_e32 v11, v11, v107
	ds_read2_b32 v[12:13], v80 offset0:98 offset1:223
	s_waitcnt vmcnt(0)
	v_mul_f32_e32 v72, v10, v111
	v_fmac_f32_e32 v11, v21, v106
	v_mul_f32_e32 v14, v20, v111
	v_fmac_f32_e32 v72, v20, v110
	ds_read2_b32 v[20:21], v88 offset0:116 offset1:241
	v_mul_f32_e32 v15, v15, v77
	v_fma_f32 v73, v10, v110, -v14
	s_waitcnt lgkmcnt(1)
	v_mul_f32_e32 v10, v12, v113
	v_mul_f32_e32 v14, v13, v113
	v_fmac_f32_e32 v15, v25, v76
	v_fma_f32 v10, v8, v112, -v10
	v_fma_f32 v76, v9, v112, -v14
	v_mul_f32_e32 v70, v8, v113
	s_waitcnt lgkmcnt(0)
	v_mul_f32_e32 v8, v21, v111
	v_mul_f32_e32 v69, v9, v113
	v_fma_f32 v8, v5, v110, -v8
	v_mul_f32_e32 v71, v5, v111
	v_sub_f32_e32 v5, v73, v76
	v_sub_f32_e32 v9, v68, v65
	v_fmac_f32_e32 v69, v13, v112
	v_add_f32_e32 v5, v5, v9
	v_add_f32_e32 v9, v76, v65
	;; [unrolled: 1-line block ×3, first 2 shown]
	v_fmac_f32_e32 v70, v12, v112
	v_fma_f32 v9, -0.5, v9, v7
	v_add_f32_e32 v12, v7, v73
	v_fmac_f32_e32 v7, -0.5, v13
	v_sub_f32_e32 v13, v76, v73
	v_sub_f32_e32 v14, v65, v68
	v_fmac_f32_e32 v55, v17, v104
	v_add_f32_e32 v13, v13, v14
	v_sub_f32_e32 v14, v72, v60
	v_sub_f32_e32 v17, v69, v59
	v_fmac_f32_e32 v62, v16, v108
	v_fmamk_f32 v16, v14, 0x3f737871, v9
	v_fmac_f32_e32 v9, 0xbf737871, v14
	v_fmamk_f32 v19, v17, 0xbf737871, v7
	v_fmac_f32_e32 v7, 0x3f737871, v17
	v_fmac_f32_e32 v9, 0xbf167918, v17
	;; [unrolled: 1-line block ×7, first 2 shown]
	ds_read_b32 v77, v100
	ds_read_b32 v21, v101
	ds_read2_b32 v[26:27], v37 offset1:125
	s_waitcnt lgkmcnt(0)
	s_barrier
	ds_write2_b32 v97, v7, v9 offset0:104 offset1:229
	v_add_f32_e32 v7, v10, v18
	v_add_f32_e32 v9, v8, v22
	v_sub_f32_e32 v24, v8, v10
	v_sub_f32_e32 v25, v22, v18
	v_fma_f32 v7, -0.5, v7, v6
	v_fma_f32 v9, -0.5, v9, v6
	v_add_f32_e32 v6, v6, v8
	v_add_f32_e32 v24, v24, v25
	v_sub_f32_e32 v25, v71, v61
	v_add_f32_e32 v6, v6, v10
	v_fmamk_f32 v43, v25, 0x3f737871, v7
	v_sub_f32_e32 v44, v70, v63
	v_add_f32_e32 v6, v6, v18
	v_fmac_f32_e32 v43, 0x3f167918, v44
	v_add_f32_e32 v6, v6, v22
	v_fmac_f32_e32 v43, 0x3e9e377a, v24
	ds_write2_b32 v37, v6, v43 offset1:125
	v_sub_f32_e32 v6, v10, v8
	v_sub_f32_e32 v43, v18, v22
	v_add_f32_e32 v6, v6, v43
	v_fmamk_f32 v43, v44, 0xbf737871, v9
	v_fmac_f32_e32 v9, 0x3f737871, v44
	v_fmac_f32_e32 v43, 0x3f167918, v25
	;; [unrolled: 1-line block ×6, first 2 shown]
	v_add_f32_e32 v6, v12, v76
	v_fmac_f32_e32 v7, 0xbf167918, v44
	v_add_f32_e32 v6, v6, v65
	v_fmac_f32_e32 v7, 0x3e9e377a, v24
	;; [unrolled: 2-line block ×3, first 2 shown]
	v_add_u32_e32 v78, 0x200, v37
	ds_write2_b32 v88, v7, v6 offset0:116 offset1:241
	v_fmac_f32_e32 v16, 0x3e9e377a, v5
	v_add_f32_e32 v5, v48, v34
	v_add_f32_e32 v7, v50, v33
	ds_write2_b32 v78, v43, v9 offset0:122 offset1:247
	v_fmac_f32_e32 v19, 0x3f167918, v14
	v_fma_f32 v5, -0.5, v5, v4
	v_add_f32_e32 v6, v4, v50
	v_fmac_f32_e32 v4, -0.5, v7
	v_sub_f32_e32 v7, v48, v50
	v_sub_f32_e32 v9, v34, v33
	;; [unrolled: 1-line block ×3, first 2 shown]
	v_fmac_f32_e32 v19, 0x3e9e377a, v13
	v_add_f32_e32 v7, v7, v9
	v_sub_f32_e32 v9, v15, v0
	v_fmamk_f32 v13, v12, 0xbf737871, v4
	v_fmac_f32_e32 v4, 0x3f737871, v12
	v_fmac_f32_e32 v13, 0x3f167918, v9
	;; [unrolled: 1-line block ×3, first 2 shown]
	v_lshl_add_u32 v79, v31, 2, 0
	v_fmac_f32_e32 v13, 0x3e9e377a, v7
	v_fmac_f32_e32 v4, 0x3e9e377a, v7
	v_add_u32_e32 v83, 0x2a00, v79
	ds_write2_b32 v89, v16, v19 offset0:110 offset1:235
	ds_write2_b32 v83, v13, v4 offset0:62 offset1:187
	v_sub_f32_e32 v4, v67, v64
	v_sub_f32_e32 v7, v54, v56
	v_add_f32_e32 v13, v64, v56
	v_add_f32_e32 v4, v4, v7
	;; [unrolled: 1-line block ×3, first 2 shown]
	v_fma_f32 v13, -0.5, v13, v29
	v_sub_f32_e32 v14, v11, v51
	v_add_f32_e32 v7, v7, v64
	v_fmamk_f32 v16, v14, 0x3f737871, v13
	v_sub_f32_e32 v17, v62, v52
	v_add_f32_e32 v7, v7, v56
	v_fmac_f32_e32 v16, 0x3f167918, v17
	v_add_f32_e32 v7, v7, v54
	v_fmac_f32_e32 v16, 0x3e9e377a, v4
	ds_write2_b32 v85, v7, v16 offset0:98 offset1:223
	v_add_f32_e32 v7, v67, v54
	v_fmac_f32_e32 v29, -0.5, v7
	v_sub_f32_e32 v7, v64, v67
	v_sub_f32_e32 v16, v56, v54
	v_add_f32_e32 v7, v7, v16
	v_fmamk_f32 v16, v17, 0xbf737871, v29
	v_fmac_f32_e32 v29, 0x3f737871, v17
	v_fmac_f32_e32 v16, 0x3f167918, v14
	;; [unrolled: 1-line block ×5, first 2 shown]
	ds_write2_b32 v93, v16, v29 offset0:92 offset1:217
	v_sub_f32_e32 v7, v57, v58
	v_sub_f32_e32 v16, v49, v41
	v_add_f32_e32 v19, v58, v41
	v_add_f32_e32 v7, v7, v16
	;; [unrolled: 1-line block ×3, first 2 shown]
	v_fma_f32 v19, -0.5, v19, v28
	v_sub_f32_e32 v24, v53, v40
	v_add_f32_e32 v16, v16, v58
	v_fmamk_f32 v25, v24, 0x3f737871, v19
	v_sub_f32_e32 v29, v55, v35
	v_add_f32_e32 v16, v16, v41
	v_fmac_f32_e32 v25, 0x3f167918, v29
	v_add_f32_e32 v16, v16, v49
	v_fmac_f32_e32 v25, 0x3e9e377a, v7
	v_add_u32_e32 v102, 0x1c00, v99
	ds_write2_b32 v102, v16, v25 offset0:83 offset1:208
	v_add_f32_e32 v16, v57, v49
	v_fmac_f32_e32 v28, -0.5, v16
	v_sub_f32_e32 v16, v58, v57
	v_sub_f32_e32 v25, v41, v49
	v_add_f32_e32 v16, v16, v25
	v_fmamk_f32 v25, v29, 0xbf737871, v28
	v_fmac_f32_e32 v28, 0x3f737871, v29
	v_fmac_f32_e32 v25, 0x3f167918, v24
	;; [unrolled: 1-line block ×5, first 2 shown]
	v_add_u32_e32 v103, 0x2000, v99
	ds_write2_b32 v103, v25, v28 offset0:77 offset1:202
	v_sub_f32_e32 v16, v50, v48
	v_sub_f32_e32 v25, v33, v34
	v_add_f32_e32 v16, v16, v25
	v_add_f32_e32 v6, v6, v48
	v_fmamk_f32 v25, v9, 0x3f737871, v5
	v_add_f32_e32 v6, v6, v34
	v_fmac_f32_e32 v25, 0x3f167918, v12
	v_add_f32_e32 v6, v6, v33
	v_fmac_f32_e32 v25, 0x3e9e377a, v16
	v_add_u32_e32 v28, 0x2600, v79
	ds_write2_b32 v28, v6, v25 offset0:68 offset1:193
	v_sub_f32_e32 v104, v8, v22
	v_sub_f32_e32 v6, v70, v71
	;; [unrolled: 1-line block ×3, first 2 shown]
	v_add_f32_e32 v6, v6, v8
	v_add_f32_e32 v8, v71, v61
	v_sub_f32_e32 v105, v10, v18
	v_fma_f32 v106, -0.5, v8, v26
	v_fmamk_f32 v107, v105, 0x3f737871, v106
	v_fmac_f32_e32 v106, 0xbf737871, v105
	v_fmac_f32_e32 v13, 0xbf737871, v14
	;; [unrolled: 1-line block ×14, first 2 shown]
	v_sub_f32_e32 v29, v73, v68
	v_sub_f32_e32 v68, v72, v69
	;; [unrolled: 1-line block ×3, first 2 shown]
	ds_write_b32 v84, v13 offset:7000
	ds_write_b32 v99, v19 offset:9500
	;; [unrolled: 1-line block ×3, first 2 shown]
	s_waitcnt lgkmcnt(0)
	s_barrier
	ds_read2_b32 v[42:43], v37 offset1:125
	ds_read2_b32 v[4:5], v88 offset0:116 offset1:241
	ds_read2_b32 v[46:47], v80 offset0:98 offset1:223
	;; [unrolled: 1-line block ×10, first 2 shown]
	ds_read_b32 v14, v101
	ds_read_b32 v22, v100
	ds_read_b32 v10, v37 offset:12000
	s_waitcnt lgkmcnt(0)
	s_barrier
	ds_write2_b32 v78, v107, v106 offset0:122 offset1:247
	v_add_f32_e32 v68, v68, v73
	v_add_f32_e32 v73, v69, v59
	v_add_f32_e32 v78, v72, v60
	v_sub_f32_e32 v65, v76, v65
	v_fma_f32 v73, -0.5, v73, v27
	v_add_f32_e32 v76, v27, v72
	v_fmac_f32_e32 v27, -0.5, v78
	v_sub_f32_e32 v72, v69, v72
	v_sub_f32_e32 v78, v59, v60
	v_add_f32_e32 v72, v72, v78
	v_fmamk_f32 v78, v29, 0xbf737871, v73
	v_fmac_f32_e32 v73, 0x3f737871, v29
	v_fmamk_f32 v100, v65, 0x3f737871, v27
	v_fmac_f32_e32 v27, 0xbf737871, v65
	v_fmac_f32_e32 v73, 0x3f167918, v65
	;; [unrolled: 1-line block ×5, first 2 shown]
	ds_write2_b32 v97, v27, v73 offset0:104 offset1:229
	v_add_f32_e32 v27, v70, v63
	v_fma_f32 v27, -0.5, v27, v26
	v_add_f32_e32 v26, v26, v71
	v_add_f32_e32 v26, v26, v70
	;; [unrolled: 1-line block ×3, first 2 shown]
	v_sub_f32_e32 v70, v71, v70
	v_add_f32_e32 v26, v26, v61
	v_sub_f32_e32 v61, v61, v63
	v_fmamk_f32 v63, v104, 0xbf737871, v27
	v_add_f32_e32 v61, v70, v61
	v_fmac_f32_e32 v63, 0xbf167918, v105
	v_fmac_f32_e32 v63, 0x3e9e377a, v61
	ds_write2_b32 v37, v26, v63 offset1:125
	v_fmac_f32_e32 v27, 0x3f737871, v104
	v_add_f32_e32 v26, v76, v69
	v_fmac_f32_e32 v27, 0x3f167918, v105
	v_add_f32_e32 v26, v26, v59
	;; [unrolled: 2-line block ×3, first 2 shown]
	ds_write2_b32 v88, v27, v26 offset0:116 offset1:241
	v_fmac_f32_e32 v100, 0xbf167918, v29
	v_sub_f32_e32 v26, v67, v54
	v_sub_f32_e32 v27, v64, v56
	;; [unrolled: 1-line block ×4, first 2 shown]
	v_add_f32_e32 v56, v62, v52
	v_add_f32_e32 v29, v29, v54
	;; [unrolled: 1-line block ×3, first 2 shown]
	v_fma_f32 v56, -0.5, v56, v77
	v_add_f32_e32 v54, v54, v62
	v_fmamk_f32 v59, v26, 0xbf737871, v56
	v_fmac_f32_e32 v78, 0xbf167918, v65
	v_add_f32_e32 v54, v54, v52
	v_fmac_f32_e32 v59, 0xbf167918, v27
	v_fmac_f32_e32 v78, 0x3e9e377a, v68
	;; [unrolled: 1-line block ×3, first 2 shown]
	v_add_f32_e32 v54, v54, v51
	v_fmac_f32_e32 v59, 0x3e9e377a, v29
	ds_write2_b32 v89, v78, v100 offset0:110 offset1:235
	ds_write2_b32 v85, v54, v59 offset0:98 offset1:223
	v_add_f32_e32 v54, v11, v51
	v_fmac_f32_e32 v77, -0.5, v54
	v_sub_f32_e32 v11, v62, v11
	v_sub_f32_e32 v51, v52, v51
	v_add_f32_e32 v11, v11, v51
	v_fmamk_f32 v51, v27, 0x3f737871, v77
	v_fmac_f32_e32 v77, 0xbf737871, v27
	v_fmac_f32_e32 v51, 0xbf167918, v26
	;; [unrolled: 1-line block ×5, first 2 shown]
	ds_write2_b32 v93, v51, v77 offset0:92 offset1:217
	v_sub_f32_e32 v11, v57, v49
	v_sub_f32_e32 v49, v53, v55
	;; [unrolled: 1-line block ×3, first 2 shown]
	v_add_f32_e32 v52, v55, v35
	v_add_f32_e32 v49, v49, v51
	;; [unrolled: 1-line block ×3, first 2 shown]
	v_fma_f32 v52, -0.5, v52, v21
	v_sub_f32_e32 v41, v58, v41
	v_add_f32_e32 v51, v51, v55
	v_fmamk_f32 v54, v11, 0xbf737871, v52
	v_add_f32_e32 v51, v51, v35
	v_fmac_f32_e32 v54, 0xbf167918, v41
	v_add_f32_e32 v51, v51, v40
	v_fmac_f32_e32 v54, 0x3e9e377a, v49
	ds_write2_b32 v102, v51, v54 offset0:83 offset1:208
	v_add_f32_e32 v51, v53, v40
	v_fmac_f32_e32 v21, -0.5, v51
	v_fmac_f32_e32 v56, 0x3f737871, v26
	v_sub_f32_e32 v51, v55, v53
	v_sub_f32_e32 v35, v35, v40
	v_fmamk_f32 v40, v41, 0x3f737871, v21
	v_fmac_f32_e32 v21, 0xbf737871, v41
	v_fmac_f32_e32 v56, 0x3f167918, v27
	v_sub_f32_e32 v26, v15, v23
	v_sub_f32_e32 v27, v0, v32
	v_add_f32_e32 v35, v51, v35
	v_fmac_f32_e32 v40, 0xbf167918, v11
	v_fmac_f32_e32 v21, 0x3f167918, v11
	v_add_f32_e32 v26, v26, v27
	v_add_f32_e32 v27, v23, v32
	v_fmac_f32_e32 v40, 0x3e9e377a, v35
	v_fmac_f32_e32 v21, 0x3e9e377a, v35
	v_fmac_f32_e32 v52, 0x3f737871, v11
	v_sub_f32_e32 v11, v50, v33
	v_fma_f32 v27, -0.5, v27, v20
	ds_write2_b32 v103, v40, v21 offset0:77 offset1:202
	v_fmac_f32_e32 v56, 0x3e9e377a, v29
	v_sub_f32_e32 v21, v48, v34
	v_fmamk_f32 v29, v11, 0xbf737871, v27
	v_fmac_f32_e32 v27, 0x3f737871, v11
	v_fmac_f32_e32 v29, 0xbf167918, v21
	;; [unrolled: 1-line block ×5, first 2 shown]
	v_add_f32_e32 v26, v20, v15
	v_add_f32_e32 v26, v26, v23
	;; [unrolled: 1-line block ×3, first 2 shown]
	v_sub_f32_e32 v15, v23, v15
	v_add_f32_e32 v23, v26, v32
	v_fmac_f32_e32 v20, -0.5, v33
	v_add_f32_e32 v23, v23, v0
	v_sub_f32_e32 v0, v32, v0
	v_fmac_f32_e32 v52, 0x3f167918, v41
	v_add_f32_e32 v0, v15, v0
	v_fmamk_f32 v15, v21, 0x3f737871, v20
	v_fmac_f32_e32 v20, 0xbf737871, v21
	v_fmac_f32_e32 v52, 0x3e9e377a, v49
	;; [unrolled: 1-line block ×4, first 2 shown]
	ds_write_b32 v84, v56 offset:7000
	ds_write_b32 v99, v52 offset:9500
	v_fmac_f32_e32 v15, 0x3e9e377a, v0
	v_fmac_f32_e32 v20, 0x3e9e377a, v0
	ds_write2_b32 v28, v23, v29 offset0:68 offset1:193
	ds_write2_b32 v83, v15, v20 offset0:62 offset1:187
	ds_write_b32 v79, v27 offset:12000
	s_waitcnt lgkmcnt(0)
	s_barrier
	s_and_saveexec_b64 s[8:9], s[0:1]
	s_cbranch_execz .LBB0_13
; %bb.12:
	s_movk_i32 s1, 0x1000
	s_mov_b64 s[8:9], 0x1360
	v_add_co_u32_e32 v20, vcc, s1, v2
	v_lshlrev_b32_e32 v0, 2, v74
	s_nop 0
	v_addc_co_u32_e32 v21, vcc, 0, v3, vcc
	v_lshl_add_u64 v[2:3], v[2:3], 0, s[8:9]
	global_load_dwordx4 v[50:53], v[20:21], off offset:864
	global_load_dwordx4 v[76:79], v[2:3], off offset:16
	v_lshl_add_u64 v[48:49], v[0:1], 3, s[4:5]
	v_lshlrev_b32_e32 v0, 2, v86
	v_lshl_add_u64 v[62:63], v[0:1], 3, s[4:5]
	v_lshlrev_b32_e32 v0, 2, v75
	v_sub_u32_e32 v11, 0, v95
	ds_read2_b32 v[28:29], v91 offset0:86 offset1:211
	ds_read2_b32 v[32:33], v97 offset0:104 offset1:229
	;; [unrolled: 1-line block ×3, first 2 shown]
	ds_read_b32 v26, v37 offset:12000
	ds_read2_b32 v[2:3], v88 offset0:116 offset1:241
	ds_read2_b32 v[40:41], v92 offset0:92 offset1:217
	;; [unrolled: 1-line block ×7, first 2 shown]
	ds_read2_b32 v[64:65], v37 offset1:125
	v_lshl_add_u64 v[94:95], v[0:1], 3, s[4:5]
	v_lshlrev_b32_e32 v0, 2, v66
	v_lshl_add_u64 v[66:67], v[0:1], 3, s[4:5]
	v_lshl_add_u64 v[84:85], v[66:67], 0, s[8:9]
	v_add_co_u32_e32 v66, vcc, s1, v66
	v_mov_b32_e32 v88, v9
	s_nop 0
	v_addc_co_u32_e32 v67, vcc, 0, v67, vcc
	v_mov_b32_e32 v90, v9
	v_add_u32_e32 v9, v82, v11
	global_load_dwordx4 v[80:83], v[66:67], off offset:864
	v_sub_u32_e32 v15, 0, v96
	v_mov_b32_e32 v92, v42
	s_waitcnt lgkmcnt(7)
	v_mov_b32_e32 v0, v3
	v_mov_b32_e32 v42, v29
	;; [unrolled: 1-line block ×4, first 2 shown]
	v_add_u32_e32 v5, v87, v15
	global_load_dwordx4 v[84:87], v[84:85], off offset:16
	s_waitcnt lgkmcnt(0)
	v_mov_b32_e32 v93, v64
	s_mov_b32 s6, s3
	v_mov_b32_e32 v37, v1
	v_lshl_add_u64 v[36:37], v[36:37], 3, v[38:39]
	s_mov_b32 s0, s7
	s_movk_i32 s4, 0x3000
	v_lshl_add_u64 v[96:97], v[94:95], 0, s[8:9]
	v_mov_b32_e32 v64, v43
	v_lshl_add_u64 v[60:61], v[62:63], 0, s[8:9]
	ds_read_b32 v15, v5
	ds_read_b32 v23, v9
	v_lshl_add_u64 v[38:39], v[48:49], 0, s[8:9]
	v_mov_b32_e32 v5, v2
	s_waitcnt vmcnt(3)
	v_pk_mul_f32 v[66:67], v[50:51], v[0:1] op_sel_hi:[1,0]
	v_pk_mul_f32 v[98:99], v[52:53], v[70:71] op_sel_hi:[1,0]
	s_waitcnt vmcnt(2)
	v_pk_mul_f32 v[100:101], v[78:79], v[68:69] op_sel_hi:[1,0]
	v_pk_mul_f32 v[102:103], v[76:77], v[42:43] op_sel_hi:[1,0]
	v_pk_fma_f32 v[54:55], v[54:55], v[50:51], v[66:67] op_sel:[0,0,1] op_sel_hi:[1,1,0] neg_lo:[0,0,1] neg_hi:[0,0,1]
	v_pk_fma_f32 v[50:51], v[72:73], v[50:51], v[66:67] op_sel:[0,0,1] op_sel_hi:[0,1,0]
	v_pk_fma_f32 v[66:67], v[46:47], v[52:53], v[98:99] op_sel:[0,0,1] op_sel_hi:[1,1,0] neg_lo:[0,0,1] neg_hi:[0,0,1]
	v_pk_fma_f32 v[52:53], v[46:47], v[52:53], v[98:99] op_sel:[0,0,1] op_sel_hi:[0,1,0]
	;; [unrolled: 2-line block ×4, first 2 shown]
	v_mov_b32_e32 v55, v51
	v_mov_b32_e32 v67, v53
	;; [unrolled: 1-line block ×4, first 2 shown]
	v_pk_add_f32 v[50:51], v[92:93], v[54:55]
	v_pk_add_f32 v[52:53], v[54:55], v[72:73] neg_lo:[0,1] neg_hi:[0,1]
	v_pk_add_f32 v[78:79], v[66:67], v[88:89]
	v_pk_add_f32 v[76:77], v[66:67], v[88:89] neg_lo:[0,1] neg_hi:[0,1]
	v_pk_add_f32 v[90:91], v[54:55], v[66:67] neg_lo:[0,1] neg_hi:[0,1]
	;; [unrolled: 1-line block ×3, first 2 shown]
	v_pk_add_f32 v[50:51], v[66:67], v[50:51]
	v_pk_fma_f32 v[78:79], v[78:79], 0.5, v[92:93] op_sel_hi:[1,0,1] neg_lo:[1,0,0] neg_hi:[1,0,0]
	v_pk_mul_f32 v[100:101], v[52:53], s[2:3] op_sel_hi:[1,0]
	v_pk_mul_f32 v[102:103], v[76:77], s[6:7] op_sel_hi:[1,0]
	v_pk_add_f32 v[90:91], v[90:91], v[98:99]
	v_pk_add_f32 v[50:51], v[50:51], v[88:89]
	v_pk_add_f32 v[98:99], v[78:79], v[100:101] op_sel:[0,1] op_sel_hi:[1,0]
	v_pk_add_f32 v[78:79], v[78:79], v[100:101] op_sel:[0,1] op_sel_hi:[1,0] neg_lo:[0,1] neg_hi:[0,1]
	v_pk_add_f32 v[66:67], v[66:67], v[54:55] neg_lo:[0,1] neg_hi:[0,1]
	v_pk_add_f32 v[88:89], v[88:89], v[72:73] neg_lo:[0,1] neg_hi:[0,1]
	v_pk_add_f32 v[54:55], v[54:55], v[72:73]
	v_pk_add_f32 v[50:51], v[50:51], v[72:73]
	v_pk_add_f32 v[78:79], v[78:79], v[102:103] op_sel:[0,1] op_sel_hi:[1,0] neg_lo:[0,1] neg_hi:[0,1]
	v_pk_add_f32 v[98:99], v[98:99], v[102:103] op_sel:[0,1] op_sel_hi:[1,0]
	v_pk_add_f32 v[88:89], v[66:67], v[88:89]
	v_pk_fma_f32 v[54:55], v[54:55], 0.5, v[92:93] op_sel_hi:[1,0,1] neg_lo:[1,0,0] neg_hi:[1,0,0]
	v_pk_mul_f32 v[66:67], v[76:77], s[2:3] op_sel_hi:[1,0]
	global_store_dwordx2 v[36:37], v[50:51], off
	v_mov_b32_e32 v50, v98
	v_mov_b32_e32 v51, v79
	v_pk_mul_f32 v[52:53], v[52:53], s[6:7] op_sel_hi:[1,0]
	v_pk_add_f32 v[72:73], v[54:55], v[66:67] op_sel:[0,1] op_sel_hi:[1,0] neg_lo:[0,1] neg_hi:[0,1]
	v_pk_add_f32 v[54:55], v[54:55], v[66:67] op_sel:[0,1] op_sel_hi:[1,0]
	v_pk_fma_f32 v[100:101], v[90:91], s[0:1], v[50:51] op_sel_hi:[1,0,1]
	v_add_co_u32_e32 v50, vcc, s1, v36
	v_pk_add_f32 v[54:55], v[54:55], v[52:53] op_sel:[0,1] op_sel_hi:[1,0] neg_lo:[0,1] neg_hi:[0,1]
	v_pk_add_f32 v[52:53], v[72:73], v[52:53] op_sel:[0,1] op_sel_hi:[1,0]
	v_addc_co_u32_e32 v51, vcc, 0, v37, vcc
	v_mov_b32_e32 v66, v52
	v_mov_b32_e32 v67, v55
	v_pk_fma_f32 v[72:73], v[88:89], s[0:1], v[66:67] op_sel_hi:[1,0,1]
	v_add_co_u32_e32 v66, vcc, s10, v36
	v_mov_b32_e32 v55, v53
	s_nop 0
	v_addc_co_u32_e32 v67, vcc, 0, v37, vcc
	v_add_co_u32_e32 v52, vcc, s4, v36
	v_pk_fma_f32 v[54:55], v[88:89], s[0:1], v[54:55] op_sel_hi:[1,0,1]
	s_nop 0
	v_addc_co_u32_e32 v53, vcc, 0, v37, vcc
	s_movk_i32 s4, 0x4000
	global_store_dwordx2 v[52:53], v[54:55], off offset:2712
	v_add_co_u32_e32 v54, vcc, s4, v36
	v_mov_b32_e32 v79, v99
	s_nop 0
	v_addc_co_u32_e32 v55, vcc, 0, v37, vcc
	v_add_co_u32_e32 v76, vcc, s1, v94
	global_store_dwordx2 v[66:67], v[72:73], off offset:1808
	s_nop 0
	v_addc_co_u32_e32 v77, vcc, 0, v95, vcc
	v_pk_fma_f32 v[72:73], v[90:91], s[0:1], v[78:79] op_sel_hi:[1,0,1]
	global_load_dwordx4 v[76:79], v[76:77], off offset:864
	v_mov_b32_e32 v42, v71
	global_store_dwordx2 v[54:55], v[72:73], off offset:3616
	s_waitcnt vmcnt(6)
	v_pk_mul_f32 v[72:73], v[80:81], v[58:59] op_sel_hi:[1,0]
	v_mov_b32_e32 v0, v47
	v_pk_fma_f32 v[88:89], v[30:31], v[80:81], v[72:73] op_sel:[0,0,1] op_sel_hi:[1,1,0] neg_lo:[0,0,1] neg_hi:[0,0,1]
	v_pk_fma_f32 v[72:73], v[30:31], v[80:81], v[72:73] op_sel:[0,0,1] op_sel_hi:[0,1,0]
	v_mov_b32_e32 v89, v73
	global_load_dwordx4 v[70:73], v[96:97], off offset:16
	v_mov_b32_e32 v30, v47
	v_pk_mul_f32 v[46:47], v[82:83], v[42:43] op_sel_hi:[1,0]
	v_mov_b32_e32 v42, v69
	v_pk_fma_f32 v[80:81], v[0:1], v[82:83], v[46:47] op_sel:[0,0,1] op_sel_hi:[1,1,0] neg_lo:[0,0,1] neg_hi:[0,0,1]
	v_pk_fma_f32 v[46:47], v[30:31], v[82:83], v[46:47] op_sel:[0,0,1] op_sel_hi:[0,1,0]
	v_mov_b32_e32 v0, v45
	v_mov_b32_e32 v30, v45
	s_waitcnt vmcnt(6)
	v_pk_mul_f32 v[44:45], v[86:87], v[42:43] op_sel_hi:[1,0]
	v_mov_b32_e32 v81, v47
	v_pk_fma_f32 v[46:47], v[0:1], v[86:87], v[44:45] op_sel:[0,0,1] op_sel_hi:[1,1,0] neg_lo:[0,0,1] neg_hi:[0,0,1]
	v_pk_fma_f32 v[44:45], v[30:31], v[86:87], v[44:45] op_sel:[0,0,1] op_sel_hi:[0,1,0]
	v_mov_b32_e32 v47, v45
	v_pk_mul_f32 v[44:45], v[84:85], v[56:57] op_sel_hi:[1,0]
	v_pk_add_f32 v[42:43], v[64:65], v[88:89]
	v_pk_fma_f32 v[68:69], v[24:25], v[84:85], v[44:45] op_sel:[0,0,1] op_sel_hi:[1,1,0] neg_lo:[0,0,1] neg_hi:[0,0,1]
	v_pk_fma_f32 v[44:45], v[24:25], v[84:85], v[44:45] op_sel:[0,0,1] op_sel_hi:[0,1,0]
	v_mov_b32_e32 v69, v45
	v_pk_add_f32 v[42:43], v[80:81], v[42:43]
	v_pk_add_f32 v[44:45], v[80:81], v[68:69] neg_lo:[0,1] neg_hi:[0,1]
	v_pk_add_f32 v[42:43], v[42:43], v[68:69]
	v_pk_add_f32 v[82:83], v[80:81], v[68:69]
	;; [unrolled: 1-line block ×3, first 2 shown]
	global_store_dwordx2 v[36:37], v[42:43], off offset:1000
	v_pk_add_f32 v[42:43], v[88:89], v[46:47] neg_lo:[0,1] neg_hi:[0,1]
	v_pk_add_f32 v[92:93], v[46:47], v[68:69] neg_lo:[0,1] neg_hi:[0,1]
	;; [unrolled: 1-line block ×3, first 2 shown]
	v_pk_add_f32 v[46:47], v[88:89], v[46:47]
	v_pk_mul_f32 v[86:87], v[44:45], s[6:7] op_sel_hi:[1,0]
	v_pk_fma_f32 v[46:47], v[46:47], 0.5, v[64:65] op_sel_hi:[1,0,1] neg_lo:[1,0,0] neg_hi:[1,0,0]
	v_pk_mul_f32 v[44:45], v[44:45], s[2:3] op_sel_hi:[1,0]
	v_pk_fma_f32 v[82:83], v[82:83], 0.5, v[64:65] op_sel_hi:[1,0,1] neg_lo:[1,0,0] neg_hi:[1,0,0]
	v_pk_mul_f32 v[84:85], v[42:43], s[2:3] op_sel_hi:[1,0]
	v_pk_mul_f32 v[42:43], v[42:43], s[6:7] op_sel_hi:[1,0]
	v_pk_add_f32 v[64:65], v[46:47], v[44:45] op_sel:[0,1] op_sel_hi:[1,0] neg_lo:[0,1] neg_hi:[0,1]
	v_pk_add_f32 v[44:45], v[46:47], v[44:45] op_sel:[0,1] op_sel_hi:[1,0]
	v_pk_add_f32 v[90:91], v[88:89], v[80:81] neg_lo:[0,1] neg_hi:[0,1]
	v_pk_add_f32 v[80:81], v[80:81], v[88:89] neg_lo:[0,1] neg_hi:[0,1]
	v_pk_add_f32 v[44:45], v[44:45], v[42:43] op_sel:[0,1] op_sel_hi:[1,0] neg_lo:[0,1] neg_hi:[0,1]
	v_pk_add_f32 v[42:43], v[64:65], v[42:43] op_sel:[0,1] op_sel_hi:[1,0]
	v_pk_add_f32 v[68:69], v[80:81], v[68:69]
	v_mov_b32_e32 v47, v45
	v_mov_b32_e32 v45, v43
	;; [unrolled: 1-line block ×3, first 2 shown]
	v_pk_fma_f32 v[42:43], v[68:69], s[0:1], v[44:45] op_sel_hi:[1,0,1]
	v_pk_add_f32 v[90:91], v[90:91], v[92:93]
	v_pk_add_f32 v[92:93], v[82:83], v[84:85] op_sel:[0,1] op_sel_hi:[1,0]
	v_pk_add_f32 v[82:83], v[82:83], v[84:85] op_sel:[0,1] op_sel_hi:[1,0] neg_lo:[0,1] neg_hi:[0,1]
	global_store_dwordx2 v[52:53], v[42:43], off offset:3712
	v_add_co_u32_e32 v42, vcc, s1, v62
	v_pk_add_f32 v[82:83], v[82:83], v[86:87] op_sel:[0,1] op_sel_hi:[1,0] neg_lo:[0,1] neg_hi:[0,1]
	v_pk_add_f32 v[84:85], v[92:93], v[86:87] op_sel:[0,1] op_sel_hi:[1,0]
	v_addc_co_u32_e32 v43, vcc, 0, v63, vcc
	s_movk_i32 s4, 0x5000
	v_mov_b32_e32 v87, v83
	v_pk_fma_f32 v[46:47], v[68:69], s[0:1], v[46:47] op_sel_hi:[1,0,1]
	global_load_dwordx4 v[42:45], v[42:43], off offset:864
	v_mov_b32_e32 v83, v85
	v_add_co_u32_e32 v62, vcc, s4, v36
	v_mov_b32_e32 v30, v59
	global_load_dwordx4 v[58:61], v[60:61], off offset:16
	v_addc_co_u32_e32 v63, vcc, 0, v37, vcc
	global_store_dwordx2 v[66:67], v[46:47], off offset:2808
	v_pk_fma_f32 v[46:47], v[90:91], s[0:1], v[82:83] op_sel_hi:[1,0,1]
	v_mov_b32_e32 v0, v31
	v_mov_b32_e32 v24, v31
	global_store_dwordx2 v[62:63], v[46:47], off offset:520
	v_mov_b32_e32 v86, v84
	s_waitcnt vmcnt(8)
	v_pk_mul_f32 v[30:31], v[76:77], v[30:31] op_sel_hi:[1,0]
	v_pk_fma_f32 v[86:87], v[90:91], s[0:1], v[86:87] op_sel_hi:[1,0,1]
	v_pk_fma_f32 v[46:47], v[0:1], v[76:77], v[30:31] op_sel:[0,0,1] op_sel_hi:[1,1,0] neg_lo:[0,0,1] neg_hi:[0,0,1]
	v_pk_fma_f32 v[30:31], v[24:25], v[76:77], v[30:31] op_sel:[0,0,1] op_sel_hi:[0,1,0]
	v_mov_b32_e32 v47, v31
	v_pk_mul_f32 v[30:31], v[78:79], v[40:41] op_sel_hi:[1,0]
	v_mov_b32_e32 v0, v25
	v_pk_fma_f32 v[64:65], v[18:19], v[78:79], v[30:31] op_sel:[0,0,1] op_sel_hi:[1,1,0] neg_lo:[0,0,1] neg_hi:[0,0,1]
	v_pk_fma_f32 v[30:31], v[18:19], v[78:79], v[30:31] op_sel:[0,0,1] op_sel_hi:[0,1,0]
	v_mov_b32_e32 v65, v31
	s_waitcnt vmcnt(6)
	v_pk_mul_f32 v[30:31], v[72:73], v[34:35] op_sel_hi:[1,0]
	v_mov_b32_e32 v18, v57
	v_pk_fma_f32 v[68:69], v[16:17], v[72:73], v[30:31] op_sel:[0,0,1] op_sel_hi:[1,1,0] neg_lo:[0,0,1] neg_hi:[0,0,1]
	v_pk_fma_f32 v[30:31], v[16:17], v[72:73], v[30:31] op_sel:[0,0,1] op_sel_hi:[0,1,0]
	v_mov_b32_e32 v16, v25
	v_pk_mul_f32 v[24:25], v[70:71], v[18:19] op_sel_hi:[1,0]
	v_mov_b32_e32 v69, v31
	v_pk_fma_f32 v[30:31], v[0:1], v[70:71], v[24:25] op_sel:[0,0,1] op_sel_hi:[1,1,0] neg_lo:[0,0,1] neg_hi:[0,0,1]
	v_pk_fma_f32 v[24:25], v[16:17], v[70:71], v[24:25] op_sel:[0,0,1] op_sel_hi:[0,1,0]
	v_mov_b32_e32 v31, v25
	s_waitcnt lgkmcnt(0)
	v_pk_add_f32 v[24:25], v[22:23], v[46:47]
	v_pk_add_f32 v[56:57], v[64:65], v[30:31] neg_lo:[0,1] neg_hi:[0,1]
	v_pk_add_f32 v[24:25], v[64:65], v[24:25]
	v_pk_add_f32 v[70:71], v[64:65], v[30:31]
	;; [unrolled: 1-line block ×3, first 2 shown]
	v_pk_add_f32 v[78:79], v[46:47], v[64:65] neg_lo:[0,1] neg_hi:[0,1]
	v_pk_add_f32 v[24:25], v[24:25], v[68:69]
	global_store_dwordx2 v[36:37], v[24:25], off offset:2000
	v_pk_add_f32 v[24:25], v[46:47], v[68:69] neg_lo:[0,1] neg_hi:[0,1]
	v_pk_add_f32 v[64:65], v[64:65], v[46:47] neg_lo:[0,1] neg_hi:[0,1]
	v_pk_add_f32 v[46:47], v[46:47], v[68:69]
	v_pk_fma_f32 v[70:71], v[70:71], 0.5, v[22:23] op_sel_hi:[1,0,1] neg_lo:[1,0,0] neg_hi:[1,0,0]
	v_pk_fma_f32 v[22:23], v[46:47], 0.5, v[22:23] op_sel_hi:[1,0,1] neg_lo:[1,0,0] neg_hi:[1,0,0]
	v_pk_mul_f32 v[46:47], v[56:57], s[2:3] op_sel_hi:[1,0]
	v_pk_mul_f32 v[72:73], v[24:25], s[2:3] op_sel_hi:[1,0]
	v_pk_mul_f32 v[76:77], v[56:57], s[6:7] op_sel_hi:[1,0]
	v_pk_mul_f32 v[24:25], v[24:25], s[6:7] op_sel_hi:[1,0]
	v_pk_add_f32 v[56:57], v[22:23], v[46:47] op_sel:[0,1] op_sel_hi:[1,0] neg_lo:[0,1] neg_hi:[0,1]
	v_pk_add_f32 v[22:23], v[22:23], v[46:47] op_sel:[0,1] op_sel_hi:[1,0]
	v_pk_add_f32 v[80:81], v[68:69], v[30:31] neg_lo:[0,1] neg_hi:[0,1]
	v_pk_add_f32 v[30:31], v[30:31], v[68:69] neg_lo:[0,1] neg_hi:[0,1]
	v_pk_add_f32 v[46:47], v[22:23], v[24:25] op_sel:[0,1] op_sel_hi:[1,0] neg_lo:[0,1] neg_hi:[0,1]
	v_pk_add_f32 v[22:23], v[56:57], v[24:25] op_sel:[0,1] op_sel_hi:[1,0]
	v_pk_add_f32 v[30:31], v[64:65], v[30:31]
	v_mov_b32_e32 v24, v22
	v_mov_b32_e32 v25, v47
	v_add_co_u32_e32 v22, vcc, s1, v48
	v_pk_fma_f32 v[24:25], v[30:31], s[0:1], v[24:25] op_sel_hi:[1,0,1]
	v_mov_b32_e32 v47, v23
	v_addc_co_u32_e32 v23, vcc, 0, v49, vcc
	global_store_dwordx2 v[66:67], v[24:25], off offset:3808
	global_load_dwordx4 v[22:25], v[22:23], off offset:864
	v_pk_fma_f32 v[30:31], v[30:31], s[0:1], v[46:47] op_sel_hi:[1,0,1]
	global_load_dwordx4 v[46:49], v[38:39], off offset:16
	v_pk_add_f32 v[78:79], v[78:79], v[80:81]
	v_pk_add_f32 v[80:81], v[70:71], v[72:73] op_sel:[0,1] op_sel_hi:[1,0]
	v_pk_add_f32 v[70:71], v[70:71], v[72:73] op_sel:[0,1] op_sel_hi:[1,0] neg_lo:[0,1] neg_hi:[0,1]
	v_pk_add_f32 v[72:73], v[80:81], v[76:77] op_sel:[0,1] op_sel_hi:[1,0]
	v_pk_add_f32 v[70:71], v[70:71], v[76:77] op_sel:[0,1] op_sel_hi:[1,0] neg_lo:[0,1] neg_hi:[0,1]
	global_store_dwordx2 v[54:55], v[30:31], off offset:616
	v_mov_b32_e32 v77, v71
	v_mov_b32_e32 v71, v73
	v_pk_fma_f32 v[30:31], v[78:79], s[0:1], v[70:71] op_sel_hi:[1,0,1]
	global_store_dwordx2 v[62:63], v[30:31], off offset:1520
	s_waitcnt vmcnt(9)
	v_pk_mul_f32 v[30:31], v[42:43], v[32:33] op_sel_hi:[1,0]
	v_mov_b32_e32 v16, v41
	v_pk_fma_f32 v[56:57], v[12:13], v[42:43], v[30:31] op_sel:[0,0,1] op_sel_hi:[1,1,0] neg_lo:[0,0,1] neg_hi:[0,0,1]
	v_pk_fma_f32 v[30:31], v[12:13], v[42:43], v[30:31] op_sel:[0,0,1] op_sel_hi:[0,1,0]
	v_mov_b32_e32 v0, v19
	v_mov_b32_e32 v12, v19
	v_pk_mul_f32 v[18:19], v[44:45], v[16:17] op_sel_hi:[1,0]
	v_mov_b32_e32 v16, v35
	v_mov_b32_e32 v57, v31
	v_pk_fma_f32 v[30:31], v[0:1], v[44:45], v[18:19] op_sel:[0,0,1] op_sel_hi:[1,1,0] neg_lo:[0,0,1] neg_hi:[0,0,1]
	v_pk_fma_f32 v[18:19], v[12:13], v[44:45], v[18:19] op_sel:[0,0,1] op_sel_hi:[0,1,0]
	v_mov_b32_e32 v0, v17
	v_mov_b32_e32 v12, v17
	s_waitcnt vmcnt(8)
	v_pk_mul_f32 v[16:17], v[60:61], v[16:17] op_sel_hi:[1,0]
	v_mov_b32_e32 v31, v19
	v_pk_fma_f32 v[18:19], v[0:1], v[60:61], v[16:17] op_sel:[0,0,1] op_sel_hi:[1,1,0] neg_lo:[0,0,1] neg_hi:[0,0,1]
	v_pk_fma_f32 v[16:17], v[12:13], v[60:61], v[16:17] op_sel:[0,0,1] op_sel_hi:[0,1,0]
	v_mov_b32_e32 v19, v17
	v_pk_mul_f32 v[16:17], v[58:59], v[20:21] op_sel_hi:[1,0]
	v_mov_b32_e32 v12, v13
	v_pk_fma_f32 v[34:35], v[6:7], v[58:59], v[16:17] op_sel:[0,0,1] op_sel_hi:[1,1,0] neg_lo:[0,0,1] neg_hi:[0,0,1]
	v_pk_fma_f32 v[16:17], v[6:7], v[58:59], v[16:17] op_sel:[0,0,1] op_sel_hi:[0,1,0]
	v_mov_b32_e32 v35, v17
	v_pk_add_f32 v[16:17], v[14:15], v[56:57]
	v_pk_add_f32 v[38:39], v[30:31], v[34:35] neg_lo:[0,1] neg_hi:[0,1]
	v_pk_add_f32 v[16:17], v[30:31], v[16:17]
	v_pk_add_f32 v[40:41], v[30:31], v[34:35]
	;; [unrolled: 1-line block ×3, first 2 shown]
	v_pk_add_f32 v[60:61], v[18:19], v[34:35] neg_lo:[0,1] neg_hi:[0,1]
	v_pk_add_f32 v[16:17], v[16:17], v[18:19]
	global_store_dwordx2 v[36:37], v[16:17], off offset:3000
	v_pk_add_f32 v[16:17], v[56:57], v[18:19] neg_lo:[0,1] neg_hi:[0,1]
	v_pk_add_f32 v[34:35], v[34:35], v[18:19] neg_lo:[0,1] neg_hi:[0,1]
	v_pk_add_f32 v[18:19], v[56:57], v[18:19]
	v_pk_fma_f32 v[40:41], v[40:41], 0.5, v[14:15] op_sel_hi:[1,0,1] neg_lo:[1,0,0] neg_hi:[1,0,0]
	v_pk_add_f32 v[58:59], v[56:57], v[30:31] neg_lo:[0,1] neg_hi:[0,1]
	v_pk_add_f32 v[30:31], v[30:31], v[56:57] neg_lo:[0,1] neg_hi:[0,1]
	v_pk_fma_f32 v[14:15], v[18:19], 0.5, v[14:15] op_sel_hi:[1,0,1] neg_lo:[1,0,0] neg_hi:[1,0,0]
	v_pk_mul_f32 v[18:19], v[38:39], s[2:3] op_sel_hi:[1,0]
	v_pk_mul_f32 v[42:43], v[16:17], s[2:3] op_sel_hi:[1,0]
	v_pk_add_f32 v[30:31], v[30:31], v[34:35]
	v_pk_mul_f32 v[16:17], v[16:17], s[6:7] op_sel_hi:[1,0]
	v_pk_add_f32 v[34:35], v[14:15], v[18:19] op_sel:[0,1] op_sel_hi:[1,0] neg_lo:[0,1] neg_hi:[0,1]
	v_pk_add_f32 v[14:15], v[14:15], v[18:19] op_sel:[0,1] op_sel_hi:[1,0]
	v_pk_mul_f32 v[44:45], v[38:39], s[6:7] op_sel_hi:[1,0]
	v_pk_add_f32 v[58:59], v[58:59], v[60:61]
	v_pk_add_f32 v[60:61], v[40:41], v[42:43] op_sel:[0,1] op_sel_hi:[1,0]
	v_pk_add_f32 v[40:41], v[40:41], v[42:43] op_sel:[0,1] op_sel_hi:[1,0] neg_lo:[0,1] neg_hi:[0,1]
	v_pk_add_f32 v[14:15], v[14:15], v[16:17] op_sel:[0,1] op_sel_hi:[1,0] neg_lo:[0,1] neg_hi:[0,1]
	v_pk_add_f32 v[16:17], v[34:35], v[16:17] op_sel:[0,1] op_sel_hi:[1,0]
	v_pk_add_f32 v[40:41], v[40:41], v[44:45] op_sel:[0,1] op_sel_hi:[1,0] neg_lo:[0,1] neg_hi:[0,1]
	v_pk_add_f32 v[42:43], v[60:61], v[44:45] op_sel:[0,1] op_sel_hi:[1,0]
	v_mov_b32_e32 v19, v15
	v_mov_b32_e32 v15, v17
	;; [unrolled: 1-line block ×3, first 2 shown]
	v_pk_fma_f32 v[14:15], v[30:31], s[0:1], v[14:15] op_sel_hi:[1,0,1]
	v_mov_b32_e32 v41, v43
	global_store_dwordx2 v[54:55], v[14:15], off offset:1616
	v_pk_fma_f32 v[14:15], v[58:59], s[0:1], v[40:41] op_sel_hi:[1,0,1]
	global_store_dwordx2 v[62:63], v[14:15], off offset:2520
	v_mov_b32_e32 v14, v33
	v_mov_b32_e32 v6, v13
	;; [unrolled: 1-line block ×5, first 2 shown]
	v_pk_fma_f32 v[76:77], v[78:79], s[0:1], v[76:77] op_sel_hi:[1,0,1]
	v_pk_fma_f32 v[44:45], v[58:59], s[0:1], v[44:45] op_sel_hi:[1,0,1]
	s_waitcnt vmcnt(6)
	v_pk_mul_f32 v[14:15], v[22:23], v[14:15] op_sel_hi:[1,0]
	v_pk_fma_f32 v[18:19], v[30:31], s[0:1], v[18:19] op_sel_hi:[1,0,1]
	v_pk_fma_f32 v[16:17], v[6:7], v[22:23], v[14:15] op_sel:[0,0,1] op_sel_hi:[1,1,0] neg_lo:[0,0,1] neg_hi:[0,0,1]
	v_pk_fma_f32 v[12:13], v[12:13], v[22:23], v[14:15] op_sel:[0,0,1] op_sel_hi:[0,1,0]
	v_mov_b32_e32 v17, v13
	v_pk_mul_f32 v[12:13], v[24:25], v[28:29] op_sel_hi:[1,0]
	s_mov_b32 s1, 0xd1b71759
	v_pk_fma_f32 v[14:15], v[8:9], v[24:25], v[12:13] op_sel:[0,0,1] op_sel_hi:[1,1,0] neg_lo:[0,0,1] neg_hi:[0,0,1]
	v_pk_fma_f32 v[8:9], v[8:9], v[24:25], v[12:13] op_sel:[0,0,1] op_sel_hi:[0,1,0]
	v_mov_b32_e32 v15, v9
	s_waitcnt vmcnt(5)
	v_pk_mul_f32 v[8:9], v[48:49], v[26:27] op_sel_hi:[1,0]
	v_mov_b32_e32 v6, v7
	v_pk_fma_f32 v[12:13], v[10:11], v[48:49], v[8:9] op_sel:[0,0,1] op_sel_hi:[1,1,0] neg_lo:[0,0,1] neg_hi:[0,0,1]
	v_pk_fma_f32 v[8:9], v[10:11], v[48:49], v[8:9] op_sel:[0,0,1] op_sel_hi:[0,1,0]
	v_mov_b32_e32 v10, v21
	v_mov_b32_e32 v8, v7
	v_pk_mul_f32 v[10:11], v[46:47], v[10:11] op_sel_hi:[1,0]
	v_mul_hi_u32 v0, v74, s1
	v_mov_b32_e32 v13, v9
	v_pk_fma_f32 v[6:7], v[6:7], v[46:47], v[10:11] op_sel:[0,0,1] op_sel_hi:[1,1,0] neg_lo:[0,0,1] neg_hi:[0,0,1]
	v_pk_fma_f32 v[8:9], v[8:9], v[46:47], v[10:11] op_sel:[0,0,1] op_sel_hi:[0,1,0]
	v_pk_add_f32 v[2:3], v[4:5], v[16:17]
	v_lshrrev_b32_e32 v0, 9, v0
	v_mov_b32_e32 v7, v9
	v_pk_add_f32 v[2:3], v[14:15], v[2:3]
	v_mul_u32_u24_e32 v0, 0x9c4, v0
	v_pk_add_f32 v[2:3], v[2:3], v[6:7]
	v_lshl_add_u64 v[0:1], v[0:1], 3, v[36:37]
	v_pk_add_f32 v[2:3], v[2:3], v[12:13]
	global_store_dwordx2 v[50:51], v[100:101], off offset:904
	global_store_dwordx2 v[50:51], v[86:87], off offset:1904
	;; [unrolled: 1-line block ×6, first 2 shown]
	v_pk_add_f32 v[2:3], v[16:17], v[12:13] neg_lo:[0,1] neg_hi:[0,1]
	v_pk_add_f32 v[10:11], v[14:15], v[6:7]
	v_pk_add_f32 v[8:9], v[14:15], v[6:7] neg_lo:[0,1] neg_hi:[0,1]
	v_pk_fma_f32 v[10:11], v[10:11], 0.5, v[4:5] op_sel_hi:[1,0,1] neg_lo:[1,0,0] neg_hi:[1,0,0]
	v_pk_mul_f32 v[18:19], v[2:3], s[2:3] op_sel_hi:[1,0]
	v_pk_add_f32 v[22:23], v[16:17], v[14:15] neg_lo:[0,1] neg_hi:[0,1]
	v_pk_add_f32 v[24:25], v[12:13], v[6:7] neg_lo:[0,1] neg_hi:[0,1]
	v_pk_mul_f32 v[20:21], v[8:9], s[6:7] op_sel_hi:[1,0]
	v_pk_add_f32 v[22:23], v[22:23], v[24:25]
	v_pk_add_f32 v[24:25], v[10:11], v[18:19] op_sel:[0,1] op_sel_hi:[1,0]
	v_pk_add_f32 v[6:7], v[6:7], v[12:13] neg_lo:[0,1] neg_hi:[0,1]
	v_pk_add_f32 v[12:13], v[16:17], v[12:13]
	v_pk_add_f32 v[10:11], v[10:11], v[18:19] op_sel:[0,1] op_sel_hi:[1,0] neg_lo:[0,1] neg_hi:[0,1]
	v_pk_add_f32 v[18:19], v[24:25], v[20:21] op_sel:[0,1] op_sel_hi:[1,0]
	v_add_co_u32_e32 v24, vcc, s10, v0
	v_pk_fma_f32 v[4:5], v[12:13], 0.5, v[4:5] op_sel_hi:[1,0,1] neg_lo:[1,0,0] neg_hi:[1,0,0]
	v_pk_mul_f32 v[8:9], v[8:9], s[2:3] op_sel_hi:[1,0]
	v_addc_co_u32_e32 v25, vcc, 0, v1, vcc
	v_pk_mul_f32 v[2:3], v[2:3], s[6:7] op_sel_hi:[1,0]
	v_pk_add_f32 v[12:13], v[4:5], v[8:9] op_sel:[0,1] op_sel_hi:[1,0] neg_lo:[0,1] neg_hi:[0,1]
	v_pk_add_f32 v[4:5], v[4:5], v[8:9] op_sel:[0,1] op_sel_hi:[1,0]
	v_pk_add_f32 v[14:15], v[14:15], v[16:17] neg_lo:[0,1] neg_hi:[0,1]
	v_pk_add_f32 v[4:5], v[4:5], v[2:3] op_sel:[0,1] op_sel_hi:[1,0] neg_lo:[0,1] neg_hi:[0,1]
	v_pk_add_f32 v[2:3], v[12:13], v[2:3] op_sel:[0,1] op_sel_hi:[1,0]
	v_add_co_u32_e32 v12, vcc, 0x3000, v0
	v_pk_add_f32 v[6:7], v[14:15], v[6:7]
	v_mov_b32_e32 v9, v5
	v_addc_co_u32_e32 v13, vcc, 0, v1, vcc
	v_mov_b32_e32 v5, v3
	v_mov_b32_e32 v8, v2
	v_pk_fma_f32 v[2:3], v[6:7], s[0:1], v[4:5] op_sel_hi:[1,0,1]
	v_add_co_u32_e32 v4, vcc, 0x4000, v0
	v_pk_add_f32 v[10:11], v[10:11], v[20:21] op_sel:[0,1] op_sel_hi:[1,0] neg_lo:[0,1] neg_hi:[0,1]
	s_nop 0
	v_addc_co_u32_e32 v5, vcc, 0, v1, vcc
	v_mov_b32_e32 v20, v18
	v_mov_b32_e32 v21, v11
	;; [unrolled: 1-line block ×3, first 2 shown]
	v_add_co_u32_e32 v0, vcc, 0x5000, v0
	v_pk_fma_f32 v[20:21], v[22:23], s[0:1], v[20:21] op_sel_hi:[1,0,1]
	v_pk_fma_f32 v[8:9], v[6:7], s[0:1], v[8:9] op_sel_hi:[1,0,1]
	global_store_dwordx2 v[4:5], v[2:3], off offset:2616
	v_pk_fma_f32 v[2:3], v[22:23], s[0:1], v[10:11] op_sel_hi:[1,0,1]
	v_addc_co_u32_e32 v1, vcc, 0, v1, vcc
	global_store_dwordx2 v[24:25], v[20:21], off offset:808
	global_store_dwordx2 v[12:13], v[8:9], off offset:1712
	;; [unrolled: 1-line block ×3, first 2 shown]
.LBB0_13:
	s_endpgm
	.section	.rodata,"a",@progbits
	.p2align	6, 0x0
	.amdhsa_kernel fft_rtc_fwd_len3125_factors_5_5_5_5_5_wgs_125_tpt_125_halfLds_sp_ip_CI_unitstride_sbrr_dirReg
		.amdhsa_group_segment_fixed_size 0
		.amdhsa_private_segment_fixed_size 0
		.amdhsa_kernarg_size 88
		.amdhsa_user_sgpr_count 2
		.amdhsa_user_sgpr_dispatch_ptr 0
		.amdhsa_user_sgpr_queue_ptr 0
		.amdhsa_user_sgpr_kernarg_segment_ptr 1
		.amdhsa_user_sgpr_dispatch_id 0
		.amdhsa_user_sgpr_kernarg_preload_length 0
		.amdhsa_user_sgpr_kernarg_preload_offset 0
		.amdhsa_user_sgpr_private_segment_size 0
		.amdhsa_uses_dynamic_stack 0
		.amdhsa_enable_private_segment 0
		.amdhsa_system_sgpr_workgroup_id_x 1
		.amdhsa_system_sgpr_workgroup_id_y 0
		.amdhsa_system_sgpr_workgroup_id_z 0
		.amdhsa_system_sgpr_workgroup_info 0
		.amdhsa_system_vgpr_workitem_id 0
		.amdhsa_next_free_vgpr 120
		.amdhsa_next_free_sgpr 22
		.amdhsa_accum_offset 120
		.amdhsa_reserve_vcc 1
		.amdhsa_float_round_mode_32 0
		.amdhsa_float_round_mode_16_64 0
		.amdhsa_float_denorm_mode_32 3
		.amdhsa_float_denorm_mode_16_64 3
		.amdhsa_dx10_clamp 1
		.amdhsa_ieee_mode 1
		.amdhsa_fp16_overflow 0
		.amdhsa_tg_split 0
		.amdhsa_exception_fp_ieee_invalid_op 0
		.amdhsa_exception_fp_denorm_src 0
		.amdhsa_exception_fp_ieee_div_zero 0
		.amdhsa_exception_fp_ieee_overflow 0
		.amdhsa_exception_fp_ieee_underflow 0
		.amdhsa_exception_fp_ieee_inexact 0
		.amdhsa_exception_int_div_zero 0
	.end_amdhsa_kernel
	.text
.Lfunc_end0:
	.size	fft_rtc_fwd_len3125_factors_5_5_5_5_5_wgs_125_tpt_125_halfLds_sp_ip_CI_unitstride_sbrr_dirReg, .Lfunc_end0-fft_rtc_fwd_len3125_factors_5_5_5_5_5_wgs_125_tpt_125_halfLds_sp_ip_CI_unitstride_sbrr_dirReg
                                        ; -- End function
	.section	.AMDGPU.csdata,"",@progbits
; Kernel info:
; codeLenInByte = 16392
; NumSgprs: 28
; NumVgprs: 120
; NumAgprs: 0
; TotalNumVgprs: 120
; ScratchSize: 0
; MemoryBound: 0
; FloatMode: 240
; IeeeMode: 1
; LDSByteSize: 0 bytes/workgroup (compile time only)
; SGPRBlocks: 3
; VGPRBlocks: 14
; NumSGPRsForWavesPerEU: 28
; NumVGPRsForWavesPerEU: 120
; AccumOffset: 120
; Occupancy: 4
; WaveLimiterHint : 1
; COMPUTE_PGM_RSRC2:SCRATCH_EN: 0
; COMPUTE_PGM_RSRC2:USER_SGPR: 2
; COMPUTE_PGM_RSRC2:TRAP_HANDLER: 0
; COMPUTE_PGM_RSRC2:TGID_X_EN: 1
; COMPUTE_PGM_RSRC2:TGID_Y_EN: 0
; COMPUTE_PGM_RSRC2:TGID_Z_EN: 0
; COMPUTE_PGM_RSRC2:TIDIG_COMP_CNT: 0
; COMPUTE_PGM_RSRC3_GFX90A:ACCUM_OFFSET: 29
; COMPUTE_PGM_RSRC3_GFX90A:TG_SPLIT: 0
	.text
	.p2alignl 6, 3212836864
	.fill 256, 4, 3212836864
	.type	__hip_cuid_54064f288d441054,@object ; @__hip_cuid_54064f288d441054
	.section	.bss,"aw",@nobits
	.globl	__hip_cuid_54064f288d441054
__hip_cuid_54064f288d441054:
	.byte	0                               ; 0x0
	.size	__hip_cuid_54064f288d441054, 1

	.ident	"AMD clang version 19.0.0git (https://github.com/RadeonOpenCompute/llvm-project roc-6.4.0 25133 c7fe45cf4b819c5991fe208aaa96edf142730f1d)"
	.section	".note.GNU-stack","",@progbits
	.addrsig
	.addrsig_sym __hip_cuid_54064f288d441054
	.amdgpu_metadata
---
amdhsa.kernels:
  - .agpr_count:     0
    .args:
      - .actual_access:  read_only
        .address_space:  global
        .offset:         0
        .size:           8
        .value_kind:     global_buffer
      - .offset:         8
        .size:           8
        .value_kind:     by_value
      - .actual_access:  read_only
        .address_space:  global
        .offset:         16
        .size:           8
        .value_kind:     global_buffer
      - .actual_access:  read_only
        .address_space:  global
        .offset:         24
        .size:           8
        .value_kind:     global_buffer
      - .offset:         32
        .size:           8
        .value_kind:     by_value
      - .actual_access:  read_only
        .address_space:  global
        .offset:         40
        .size:           8
        .value_kind:     global_buffer
      - .actual_access:  read_only
        .address_space:  global
        .offset:         48
        .size:           8
        .value_kind:     global_buffer
      - .offset:         56
        .size:           4
        .value_kind:     by_value
      - .actual_access:  read_only
        .address_space:  global
        .offset:         64
        .size:           8
        .value_kind:     global_buffer
      - .actual_access:  read_only
        .address_space:  global
        .offset:         72
        .size:           8
        .value_kind:     global_buffer
      - .address_space:  global
        .offset:         80
        .size:           8
        .value_kind:     global_buffer
    .group_segment_fixed_size: 0
    .kernarg_segment_align: 8
    .kernarg_segment_size: 88
    .language:       OpenCL C
    .language_version:
      - 2
      - 0
    .max_flat_workgroup_size: 125
    .name:           fft_rtc_fwd_len3125_factors_5_5_5_5_5_wgs_125_tpt_125_halfLds_sp_ip_CI_unitstride_sbrr_dirReg
    .private_segment_fixed_size: 0
    .sgpr_count:     28
    .sgpr_spill_count: 0
    .symbol:         fft_rtc_fwd_len3125_factors_5_5_5_5_5_wgs_125_tpt_125_halfLds_sp_ip_CI_unitstride_sbrr_dirReg.kd
    .uniform_work_group_size: 1
    .uses_dynamic_stack: false
    .vgpr_count:     120
    .vgpr_spill_count: 0
    .wavefront_size: 64
amdhsa.target:   amdgcn-amd-amdhsa--gfx950
amdhsa.version:
  - 1
  - 2
...

	.end_amdgpu_metadata
